;; amdgpu-corpus repo=ROCm/rocFFT kind=compiled arch=gfx1201 opt=O3
	.text
	.amdgcn_target "amdgcn-amd-amdhsa--gfx1201"
	.amdhsa_code_object_version 6
	.protected	fft_rtc_fwd_len289_factors_17_17_wgs_119_tpt_17_dp_ip_CI_sbcc_twdbase5_3step_dirReg_intrinsicRead ; -- Begin function fft_rtc_fwd_len289_factors_17_17_wgs_119_tpt_17_dp_ip_CI_sbcc_twdbase5_3step_dirReg_intrinsicRead
	.globl	fft_rtc_fwd_len289_factors_17_17_wgs_119_tpt_17_dp_ip_CI_sbcc_twdbase5_3step_dirReg_intrinsicRead
	.p2align	8
	.type	fft_rtc_fwd_len289_factors_17_17_wgs_119_tpt_17_dp_ip_CI_sbcc_twdbase5_3step_dirReg_intrinsicRead,@function
fft_rtc_fwd_len289_factors_17_17_wgs_119_tpt_17_dp_ip_CI_sbcc_twdbase5_3step_dirReg_intrinsicRead: ; @fft_rtc_fwd_len289_factors_17_17_wgs_119_tpt_17_dp_ip_CI_sbcc_twdbase5_3step_dirReg_intrinsicRead
; %bb.0:
	s_load_b256 s[4:11], s[0:1], 0x8
	v_mov_b32_e32 v5, v0
	s_mov_b32 s18, ttmp9
	s_mov_b32 s2, exec_lo
	s_delay_alu instid0(VALU_DEP_1)
	v_cmpx_gt_u32_e32 0x60, v5
	s_cbranch_execz .LBB0_2
; %bb.1:
	v_lshlrev_b32_e32 v4, 4, v5
	s_wait_kmcnt 0x0
	global_load_b128 v[0:3], v4, s[4:5]
	v_add3_u32 v4, 0, v4, 0x7e70
	s_wait_loadcnt 0x0
	ds_store_2addr_b64 v4, v[0:1], v[2:3] offset1:1
.LBB0_2:
	s_or_b32 exec_lo, exec_lo, s2
	s_mov_b32 s19, 0
	s_mov_b32 s2, 0x92481000
	s_movk_i32 s3, 0x64
	s_wait_kmcnt 0x0
	s_mov_b32 s4, s19
	s_mov_b32 s5, s19
	s_load_b64 s[16:17], s[8:9], 0x8
	s_add_nc_u64 s[2:3], s[4:5], s[2:3]
	s_mov_b32 s15, s19
	s_add_co_i32 s3, s3, 0x249248c0
	s_mov_b64 s[24:25], 0
	s_mul_u64 s[4:5], s[2:3], -7
	s_delay_alu instid0(SALU_CYCLE_1)
	s_mul_hi_u32 s13, s2, s5
	s_mul_i32 s12, s2, s5
	s_mul_hi_u32 s14, s2, s4
	s_mul_hi_u32 s20, s3, s4
	s_mul_i32 s4, s3, s4
	s_add_nc_u64 s[12:13], s[14:15], s[12:13]
	s_mul_hi_u32 s14, s3, s5
	s_add_co_u32 s4, s12, s4
	s_add_co_ci_u32 s4, s13, s20
	s_add_co_ci_u32 s13, s14, 0
	s_mul_i32 s12, s3, s5
	s_mov_b32 s5, s19
	s_delay_alu instid0(SALU_CYCLE_1) | instskip(SKIP_3) | instid1(VALU_DEP_1)
	s_add_nc_u64 s[4:5], s[4:5], s[12:13]
	s_wait_kmcnt 0x0
	s_add_nc_u64 s[12:13], s[16:17], -1
	v_add_co_u32 v0, s2, s2, s4
	s_cmp_lg_u32 s2, 0
	s_add_co_ci_u32 s15, s3, s5
	s_delay_alu instid0(VALU_DEP_1) | instskip(SKIP_3) | instid1(VALU_DEP_1)
	v_readfirstlane_b32 s14, v0
	s_mul_hi_u32 s3, s12, s15
	s_mul_i32 s2, s12, s15
	s_mov_b32 s5, s19
	s_mul_hi_u32 s4, s12, s14
	s_wait_alu 0xfffe
	s_add_nc_u64 s[2:3], s[4:5], s[2:3]
	s_mul_i32 s5, s13, s14
	s_mul_hi_u32 s14, s13, s14
	s_mul_hi_u32 s4, s13, s15
	s_wait_alu 0xfffe
	s_add_co_u32 s2, s2, s5
	s_add_co_ci_u32 s2, s3, s14
	s_add_co_ci_u32 s5, s4, 0
	s_mul_i32 s4, s13, s15
	s_mov_b32 s3, s19
	s_wait_alu 0xfffe
	s_add_nc_u64 s[2:3], s[2:3], s[4:5]
	s_wait_alu 0xfffe
	s_mul_u64 s[4:5], s[2:3], 7
	s_wait_alu 0xfffe
	v_sub_co_u32 v0, s4, s12, s4
	s_delay_alu instid0(VALU_DEP_1) | instskip(SKIP_1) | instid1(VALU_DEP_1)
	s_cmp_lg_u32 s4, 0
	s_sub_co_ci_u32 s14, s13, s5
	v_sub_co_u32 v1, s12, v0, 7
	s_delay_alu instid0(VALU_DEP_1) | instskip(SKIP_2) | instid1(VALU_DEP_2)
	s_cmp_lg_u32 s12, 0
	v_readfirstlane_b32 s20, v0
	s_sub_co_ci_u32 s12, s14, 0
	v_readfirstlane_b32 s4, v1
	s_delay_alu instid0(VALU_DEP_1)
	s_cmp_gt_u32 s4, 6
	s_add_nc_u64 s[4:5], s[2:3], 1
	s_cselect_b32 s15, -1, 0
	s_wait_alu 0xfffe
	s_cmp_eq_u32 s12, 0
	s_add_nc_u64 s[12:13], s[2:3], 2
	s_cselect_b32 s15, s15, -1
	s_delay_alu instid0(SALU_CYCLE_1)
	s_cmp_lg_u32 s15, 0
	s_wait_alu 0xfffe
	s_cselect_b32 s4, s12, s4
	s_cselect_b32 s5, s13, s5
	s_cmp_gt_u32 s20, 6
	s_cselect_b32 s12, -1, 0
	s_cmp_eq_u32 s14, 0
	s_wait_alu 0xfffe
	s_cselect_b32 s12, s12, -1
	s_wait_alu 0xfffe
	s_cmp_lg_u32 s12, 0
	s_cselect_b32 s3, s5, s3
	s_cselect_b32 s2, s4, s2
	s_wait_alu 0xfffe
	s_add_nc_u64 s[20:21], s[2:3], 1
	s_delay_alu instid0(SALU_CYCLE_1) | instskip(NEXT) | instid1(VALU_DEP_1)
	v_cmp_lt_u64_e64 s2, s[18:19], s[20:21]
	s_and_b32 vcc_lo, exec_lo, s2
	s_cbranch_vccnz .LBB0_4
; %bb.3:
	v_cvt_f32_u32_e32 v0, s20
	s_sub_co_i32 s3, 0, s20
	s_mov_b32 s25, s19
	s_delay_alu instid0(VALU_DEP_1) | instskip(NEXT) | instid1(TRANS32_DEP_1)
	v_rcp_iflag_f32_e32 v0, v0
	v_mul_f32_e32 v0, 0x4f7ffffe, v0
	s_delay_alu instid0(VALU_DEP_1) | instskip(NEXT) | instid1(VALU_DEP_1)
	v_cvt_u32_f32_e32 v0, v0
	v_readfirstlane_b32 s2, v0
	s_wait_alu 0xfffe
	s_delay_alu instid0(VALU_DEP_1)
	s_mul_i32 s3, s3, s2
	s_wait_alu 0xfffe
	s_mul_hi_u32 s3, s2, s3
	s_wait_alu 0xfffe
	s_add_co_i32 s2, s2, s3
	s_wait_alu 0xfffe
	s_mul_hi_u32 s2, s18, s2
	s_wait_alu 0xfffe
	s_mul_i32 s3, s2, s20
	s_add_co_i32 s4, s2, 1
	s_wait_alu 0xfffe
	s_sub_co_i32 s3, s18, s3
	s_wait_alu 0xfffe
	s_sub_co_i32 s5, s3, s20
	s_cmp_ge_u32 s3, s20
	s_cselect_b32 s2, s4, s2
	s_wait_alu 0xfffe
	s_cselect_b32 s3, s5, s3
	s_add_co_i32 s4, s2, 1
	s_wait_alu 0xfffe
	s_cmp_ge_u32 s3, s20
	s_cselect_b32 s24, s4, s2
.LBB0_4:
	s_load_b128 s[12:15], s[10:11], 0x0
	s_clause 0x1
	s_load_b64 s[2:3], s[0:1], 0x58
	s_load_b64 s[4:5], s[0:1], 0x0
	v_cmp_lt_u64_e64 s26, s[6:7], 3
	s_mul_u64 s[0:1], s[24:25], s[20:21]
	s_delay_alu instid0(SALU_CYCLE_1) | instskip(NEXT) | instid1(SALU_CYCLE_1)
	s_sub_nc_u64 s[0:1], s[18:19], s[0:1]
	s_mul_u64 s[22:23], s[0:1], 7
	s_delay_alu instid0(VALU_DEP_1)
	s_and_b32 vcc_lo, exec_lo, s26
	s_wait_kmcnt 0x0
	s_mul_u64 s[0:1], s[14:15], s[22:23]
	s_cbranch_vccnz .LBB0_14
; %bb.5:
	s_add_nc_u64 s[26:27], s[10:11], 16
	s_add_nc_u64 s[8:9], s[8:9], 16
	s_mov_b64 s[28:29], 2
	s_mov_b32 s30, 0
.LBB0_6:                                ; =>This Inner Loop Header: Depth=1
	s_load_b64 s[34:35], s[8:9], 0x0
                                        ; implicit-def: $sgpr38_sgpr39
	s_wait_kmcnt 0x0
	s_or_b64 s[36:37], s[24:25], s[34:35]
	s_delay_alu instid0(SALU_CYCLE_1)
	s_mov_b32 s31, s37
	s_mov_b32 s37, -1
	s_wait_alu 0xfffe
	s_cmp_lg_u64 s[30:31], 0
	s_cbranch_scc0 .LBB0_8
; %bb.7:                                ;   in Loop: Header=BB0_6 Depth=1
	s_cvt_f32_u32 s31, s34
	s_cvt_f32_u32 s33, s35
	s_sub_nc_u64 s[40:41], 0, s[34:35]
	s_mov_b32 s37, 0
	s_mov_b32 s45, s30
	s_wait_alu 0xfffe
	s_fmamk_f32 s31, s33, 0x4f800000, s31
	s_wait_alu 0xfffe
	s_delay_alu instid0(SALU_CYCLE_2) | instskip(NEXT) | instid1(TRANS32_DEP_1)
	v_s_rcp_f32 s31, s31
	s_mul_f32 s31, s31, 0x5f7ffffc
	s_wait_alu 0xfffe
	s_delay_alu instid0(SALU_CYCLE_2) | instskip(NEXT) | instid1(SALU_CYCLE_3)
	s_mul_f32 s33, s31, 0x2f800000
	s_trunc_f32 s33, s33
	s_delay_alu instid0(SALU_CYCLE_3) | instskip(SKIP_2) | instid1(SALU_CYCLE_1)
	s_fmamk_f32 s31, s33, 0xcf800000, s31
	s_cvt_u32_f32 s39, s33
	s_wait_alu 0xfffe
	s_cvt_u32_f32 s38, s31
	s_wait_alu 0xfffe
	s_delay_alu instid0(SALU_CYCLE_2)
	s_mul_u64 s[42:43], s[40:41], s[38:39]
	s_wait_alu 0xfffe
	s_mul_hi_u32 s47, s38, s43
	s_mul_i32 s46, s38, s43
	s_mul_hi_u32 s36, s38, s42
	s_mul_i32 s33, s39, s42
	s_add_nc_u64 s[46:47], s[36:37], s[46:47]
	s_mul_hi_u32 s31, s39, s42
	s_mul_hi_u32 s48, s39, s43
	s_add_co_u32 s33, s46, s33
	s_wait_alu 0xfffe
	s_add_co_ci_u32 s44, s47, s31
	s_mul_i32 s42, s39, s43
	s_add_co_ci_u32 s43, s48, 0
	s_wait_alu 0xfffe
	s_add_nc_u64 s[42:43], s[44:45], s[42:43]
	s_wait_alu 0xfffe
	v_add_co_u32 v0, s31, s38, s42
	s_delay_alu instid0(VALU_DEP_1) | instskip(SKIP_1) | instid1(VALU_DEP_1)
	s_cmp_lg_u32 s31, 0
	s_add_co_ci_u32 s39, s39, s43
	v_readfirstlane_b32 s38, v0
	s_mov_b32 s43, s30
	s_wait_alu 0xfffe
	s_delay_alu instid0(VALU_DEP_1)
	s_mul_u64 s[40:41], s[40:41], s[38:39]
	s_wait_alu 0xfffe
	s_mul_hi_u32 s45, s38, s41
	s_mul_i32 s44, s38, s41
	s_mul_hi_u32 s36, s38, s40
	s_mul_i32 s33, s39, s40
	s_add_nc_u64 s[44:45], s[36:37], s[44:45]
	s_mul_hi_u32 s31, s39, s40
	s_mul_hi_u32 s38, s39, s41
	s_add_co_u32 s33, s44, s33
	s_wait_alu 0xfffe
	s_add_co_ci_u32 s42, s45, s31
	s_mul_i32 s40, s39, s41
	s_add_co_ci_u32 s41, s38, 0
	s_wait_alu 0xfffe
	s_add_nc_u64 s[40:41], s[42:43], s[40:41]
	s_wait_alu 0xfffe
	v_add_co_u32 v0, s31, v0, s40
	s_delay_alu instid0(VALU_DEP_1) | instskip(SKIP_1) | instid1(VALU_DEP_1)
	s_cmp_lg_u32 s31, 0
	s_add_co_ci_u32 s31, s39, s41
	v_readfirstlane_b32 s33, v0
	s_wait_alu 0xfffe
	s_mul_hi_u32 s39, s24, s31
	s_mul_i32 s38, s24, s31
	s_mul_hi_u32 s41, s25, s31
	s_mul_i32 s40, s25, s31
	;; [unrolled: 2-line block ×3, first 2 shown]
	s_wait_alu 0xfffe
	s_add_nc_u64 s[38:39], s[36:37], s[38:39]
	s_mul_hi_u32 s33, s25, s33
	s_wait_alu 0xfffe
	s_add_co_u32 s31, s38, s31
	s_add_co_ci_u32 s42, s39, s33
	s_add_co_ci_u32 s41, s41, 0
	s_wait_alu 0xfffe
	s_add_nc_u64 s[38:39], s[42:43], s[40:41]
	s_wait_alu 0xfffe
	s_mul_u64 s[40:41], s[34:35], s[38:39]
	s_add_nc_u64 s[42:43], s[38:39], 1
	s_wait_alu 0xfffe
	v_sub_co_u32 v0, s31, s24, s40
	s_sub_co_i32 s33, s25, s41
	s_cmp_lg_u32 s31, 0
	s_add_nc_u64 s[44:45], s[38:39], 2
	s_delay_alu instid0(VALU_DEP_1) | instskip(SKIP_2) | instid1(VALU_DEP_1)
	v_sub_co_u32 v1, s36, v0, s34
	s_sub_co_ci_u32 s33, s33, s35
	s_cmp_lg_u32 s36, 0
	v_readfirstlane_b32 s36, v1
	s_sub_co_ci_u32 s33, s33, 0
	s_delay_alu instid0(SALU_CYCLE_1) | instskip(SKIP_1) | instid1(VALU_DEP_1)
	s_cmp_ge_u32 s33, s35
	s_cselect_b32 s40, -1, 0
	s_cmp_ge_u32 s36, s34
	s_cselect_b32 s36, -1, 0
	s_cmp_eq_u32 s33, s35
	s_wait_alu 0xfffe
	s_cselect_b32 s33, s36, s40
	s_delay_alu instid0(SALU_CYCLE_1)
	s_cmp_lg_u32 s33, 0
	s_cselect_b32 s33, s44, s42
	s_cselect_b32 s36, s45, s43
	s_cmp_lg_u32 s31, 0
	v_readfirstlane_b32 s31, v0
	s_sub_co_ci_u32 s40, s25, s41
	s_wait_alu 0xfffe
	s_cmp_ge_u32 s40, s35
	s_cselect_b32 s41, -1, 0
	s_cmp_ge_u32 s31, s34
	s_cselect_b32 s31, -1, 0
	s_cmp_eq_u32 s40, s35
	s_wait_alu 0xfffe
	s_cselect_b32 s31, s31, s41
	s_wait_alu 0xfffe
	s_cmp_lg_u32 s31, 0
	s_cselect_b32 s39, s36, s39
	s_cselect_b32 s38, s33, s38
.LBB0_8:                                ;   in Loop: Header=BB0_6 Depth=1
	s_and_not1_b32 vcc_lo, exec_lo, s37
	s_cbranch_vccnz .LBB0_10
; %bb.9:                                ;   in Loop: Header=BB0_6 Depth=1
	v_cvt_f32_u32_e32 v0, s34
	s_sub_co_i32 s33, 0, s34
	s_mov_b32 s39, s30
	s_delay_alu instid0(VALU_DEP_1) | instskip(NEXT) | instid1(TRANS32_DEP_1)
	v_rcp_iflag_f32_e32 v0, v0
	v_mul_f32_e32 v0, 0x4f7ffffe, v0
	s_delay_alu instid0(VALU_DEP_1) | instskip(NEXT) | instid1(VALU_DEP_1)
	v_cvt_u32_f32_e32 v0, v0
	v_readfirstlane_b32 s31, v0
	s_delay_alu instid0(VALU_DEP_1) | instskip(NEXT) | instid1(SALU_CYCLE_1)
	s_mul_i32 s33, s33, s31
	s_mul_hi_u32 s33, s31, s33
	s_delay_alu instid0(SALU_CYCLE_1)
	s_add_co_i32 s31, s31, s33
	s_wait_alu 0xfffe
	s_mul_hi_u32 s31, s24, s31
	s_wait_alu 0xfffe
	s_mul_i32 s33, s31, s34
	s_add_co_i32 s36, s31, 1
	s_sub_co_i32 s33, s24, s33
	s_delay_alu instid0(SALU_CYCLE_1)
	s_sub_co_i32 s37, s33, s34
	s_cmp_ge_u32 s33, s34
	s_cselect_b32 s31, s36, s31
	s_cselect_b32 s33, s37, s33
	s_wait_alu 0xfffe
	s_add_co_i32 s36, s31, 1
	s_cmp_ge_u32 s33, s34
	s_cselect_b32 s38, s36, s31
.LBB0_10:                               ;   in Loop: Header=BB0_6 Depth=1
	s_load_b64 s[36:37], s[26:27], 0x0
	s_add_nc_u64 s[28:29], s[28:29], 1
	s_mul_u64 s[20:21], s[34:35], s[20:21]
	s_wait_alu 0xfffe
	v_cmp_ge_u64_e64 s31, s[28:29], s[6:7]
	s_mul_u64 s[34:35], s[38:39], s[34:35]
	s_add_nc_u64 s[26:27], s[26:27], 8
	s_wait_alu 0xfffe
	s_sub_nc_u64 s[24:25], s[24:25], s[34:35]
	s_add_nc_u64 s[8:9], s[8:9], 8
	s_and_b32 vcc_lo, exec_lo, s31
	s_wait_kmcnt 0x0
	s_wait_alu 0xfffe
	s_mul_u64 s[24:25], s[36:37], s[24:25]
	s_wait_alu 0xfffe
	s_add_nc_u64 s[0:1], s[24:25], s[0:1]
	s_cbranch_vccnz .LBB0_12
; %bb.11:                               ;   in Loop: Header=BB0_6 Depth=1
	s_mov_b64 s[24:25], s[38:39]
	s_branch .LBB0_6
.LBB0_12:
	v_cmp_lt_u64_e64 s8, s[18:19], s[20:21]
	s_mov_b64 s[24:25], 0
	s_delay_alu instid0(VALU_DEP_1)
	s_and_b32 vcc_lo, exec_lo, s8
	s_cbranch_vccnz .LBB0_14
; %bb.13:
	v_cvt_f32_u32_e32 v0, s20
	s_sub_co_i32 s9, 0, s20
	s_mov_b32 s25, 0
	s_delay_alu instid0(VALU_DEP_1) | instskip(NEXT) | instid1(TRANS32_DEP_1)
	v_rcp_iflag_f32_e32 v0, v0
	v_mul_f32_e32 v0, 0x4f7ffffe, v0
	s_delay_alu instid0(VALU_DEP_1) | instskip(NEXT) | instid1(VALU_DEP_1)
	v_cvt_u32_f32_e32 v0, v0
	v_readfirstlane_b32 s8, v0
	s_delay_alu instid0(VALU_DEP_1) | instskip(NEXT) | instid1(SALU_CYCLE_1)
	s_mul_i32 s9, s9, s8
	s_mul_hi_u32 s9, s8, s9
	s_delay_alu instid0(SALU_CYCLE_1) | instskip(NEXT) | instid1(SALU_CYCLE_1)
	s_add_co_i32 s8, s8, s9
	s_mul_hi_u32 s8, s18, s8
	s_delay_alu instid0(SALU_CYCLE_1) | instskip(NEXT) | instid1(SALU_CYCLE_1)
	s_mul_i32 s9, s8, s20
	s_sub_co_i32 s9, s18, s9
	s_add_co_i32 s18, s8, 1
	s_sub_co_i32 s19, s9, s20
	s_cmp_ge_u32 s9, s20
	s_wait_alu 0xfffe
	s_cselect_b32 s8, s18, s8
	s_cselect_b32 s9, s19, s9
	s_add_co_i32 s18, s8, 1
	s_cmp_ge_u32 s9, s20
	s_wait_alu 0xfffe
	s_cselect_b32 s24, s18, s8
.LBB0_14:
	v_mul_hi_u32 v255, 0x24924925, v5
	s_lshl_b64 s[6:7], s[6:7], 3
	v_mov_b32_e32 v7, 0
	s_wait_alu 0xfffe
	s_add_nc_u64 s[6:7], s[10:11], s[6:7]
	v_mov_b32_e32 v8, 0
	s_load_b64 s[6:7], s[6:7], 0x0
	v_mov_b32_e32 v3, v7
	v_mul_u32_u24_e32 v0, 7, v255
	s_delay_alu instid0(VALU_DEP_3) | instskip(NEXT) | instid1(VALU_DEP_2)
	v_mov_b32_e32 v4, v8
	v_sub_nc_u32_e32 v0, v5, v0
	scratch_store_b32 off, v5, off offset:232 ; 4-byte Folded Spill
	v_mov_b32_e32 v5, 0
	v_mad_co_u64_u32 v[57:58], null, s14, v0, 0
	v_add_co_u32 v71, s8, s22, v0
	s_delay_alu instid0(VALU_DEP_1) | instskip(SKIP_3) | instid1(VALU_DEP_3)
	v_add_co_ci_u32_e64 v72, null, s23, 0, s8
	s_add_nc_u64 s[8:9], s[22:23], 7
	s_wait_kmcnt 0x0
	s_mul_u64 s[6:7], s[6:7], s[24:25]
	v_mov_b32_e32 v1, v58
	s_wait_alu 0xfffe
	v_cmp_le_u64_e64 s8, s[8:9], s[16:17]
	v_cmp_gt_u64_e32 vcc_lo, s[16:17], v[71:72]
	s_add_nc_u64 s[0:1], s[6:7], s[0:1]
	scratch_store_b32 off, v0, off offset:8 ; 4-byte Folded Spill
	v_mad_co_u64_u32 v[1:2], null, s15, v0, v[1:2]
	s_or_b32 s33, s8, vcc_lo
	s_delay_alu instid0(VALU_DEP_1)
	v_dual_mov_b32 v58, v1 :: v_dual_mov_b32 v1, v7
	v_mov_b32_e32 v2, v8
	s_and_saveexec_b32 s6, s33
	s_cbranch_execz .LBB0_16
; %bb.15:
	v_mul_lo_u32 v0, s12, v255
	s_delay_alu instid0(VALU_DEP_1) | instskip(NEXT) | instid1(VALU_DEP_1)
	v_add3_u32 v4, s0, v57, v0
	v_lshlrev_b64_e32 v[1:2], 4, v[4:5]
	s_delay_alu instid0(VALU_DEP_1) | instskip(NEXT) | instid1(VALU_DEP_2)
	v_add_co_u32 v1, vcc_lo, s2, v1
	v_add_co_ci_u32_e32 v2, vcc_lo, s3, v2, vcc_lo
	global_load_b128 v[1:4], v[1:2], off
.LBB0_16:
	s_wait_alu 0xfffe
	s_or_b32 exec_lo, exec_lo, s6
	v_dual_mov_b32 v5, v7 :: v_dual_mov_b32 v6, v8
	s_and_saveexec_b32 s6, s33
	s_cbranch_execz .LBB0_18
; %bb.17:
	v_add_nc_u32_e32 v0, 17, v255
	v_mov_b32_e32 v6, 0
	s_delay_alu instid0(VALU_DEP_2) | instskip(NEXT) | instid1(VALU_DEP_1)
	v_mul_lo_u32 v0, s12, v0
	v_add3_u32 v5, s0, v57, v0
	s_delay_alu instid0(VALU_DEP_1) | instskip(NEXT) | instid1(VALU_DEP_1)
	v_lshlrev_b64_e32 v[5:6], 4, v[5:6]
	v_add_co_u32 v5, vcc_lo, s2, v5
	s_wait_alu 0xfffd
	s_delay_alu instid0(VALU_DEP_2)
	v_add_co_ci_u32_e32 v6, vcc_lo, s3, v6, vcc_lo
	global_load_b128 v[5:8], v[5:6], off
.LBB0_18:
	s_wait_alu 0xfffe
	s_or_b32 exec_lo, exec_lo, s6
	v_mov_b32_e32 v15, 0
	v_mov_b32_e32 v16, 0
	s_delay_alu instid0(VALU_DEP_2) | instskip(NEXT) | instid1(VALU_DEP_2)
	v_mov_b32_e32 v11, v15
	v_dual_mov_b32 v9, v15 :: v_dual_mov_b32 v10, v16
	v_mov_b32_e32 v12, v16
	s_and_saveexec_b32 s6, s33
	s_cbranch_execz .LBB0_20
; %bb.19:
	v_add_nc_u32_e32 v0, 34, v255
	v_mov_b32_e32 v10, 0
	s_delay_alu instid0(VALU_DEP_2) | instskip(NEXT) | instid1(VALU_DEP_1)
	v_mul_lo_u32 v0, s12, v0
	v_add3_u32 v9, s0, v57, v0
	s_delay_alu instid0(VALU_DEP_1) | instskip(NEXT) | instid1(VALU_DEP_1)
	v_lshlrev_b64_e32 v[9:10], 4, v[9:10]
	v_add_co_u32 v9, vcc_lo, s2, v9
	s_wait_alu 0xfffd
	s_delay_alu instid0(VALU_DEP_2)
	v_add_co_ci_u32_e32 v10, vcc_lo, s3, v10, vcc_lo
	global_load_b128 v[9:12], v[9:10], off
.LBB0_20:
	s_wait_alu 0xfffe
	s_or_b32 exec_lo, exec_lo, s6
	v_dual_mov_b32 v13, v15 :: v_dual_mov_b32 v14, v16
	s_and_saveexec_b32 s6, s33
	s_cbranch_execz .LBB0_22
; %bb.21:
	v_add_nc_u32_e32 v0, 51, v255
	v_mov_b32_e32 v14, 0
	s_delay_alu instid0(VALU_DEP_2) | instskip(NEXT) | instid1(VALU_DEP_1)
	v_mul_lo_u32 v0, s12, v0
	v_add3_u32 v13, s0, v57, v0
	s_delay_alu instid0(VALU_DEP_1) | instskip(NEXT) | instid1(VALU_DEP_1)
	v_lshlrev_b64_e32 v[13:14], 4, v[13:14]
	v_add_co_u32 v13, vcc_lo, s2, v13
	s_wait_alu 0xfffd
	s_delay_alu instid0(VALU_DEP_2)
	v_add_co_ci_u32_e32 v14, vcc_lo, s3, v14, vcc_lo
	global_load_b128 v[13:16], v[13:14], off
.LBB0_22:
	s_wait_alu 0xfffe
	s_or_b32 exec_lo, exec_lo, s6
	v_mov_b32_e32 v23, 0
	v_mov_b32_e32 v24, 0
	s_delay_alu instid0(VALU_DEP_2) | instskip(NEXT) | instid1(VALU_DEP_2)
	v_mov_b32_e32 v19, v23
	v_dual_mov_b32 v17, v23 :: v_dual_mov_b32 v18, v24
	v_mov_b32_e32 v20, v24
	s_and_saveexec_b32 s6, s33
	s_cbranch_execz .LBB0_24
; %bb.23:
	v_add_nc_u32_e32 v0, 0x44, v255
	v_mov_b32_e32 v18, 0
	s_delay_alu instid0(VALU_DEP_2) | instskip(NEXT) | instid1(VALU_DEP_1)
	v_mul_lo_u32 v0, s12, v0
	v_add3_u32 v17, s0, v57, v0
	s_delay_alu instid0(VALU_DEP_1) | instskip(NEXT) | instid1(VALU_DEP_1)
	v_lshlrev_b64_e32 v[17:18], 4, v[17:18]
	v_add_co_u32 v17, vcc_lo, s2, v17
	s_wait_alu 0xfffd
	s_delay_alu instid0(VALU_DEP_2)
	v_add_co_ci_u32_e32 v18, vcc_lo, s3, v18, vcc_lo
	global_load_b128 v[17:20], v[17:18], off
.LBB0_24:
	s_wait_alu 0xfffe
	s_or_b32 exec_lo, exec_lo, s6
	v_dual_mov_b32 v21, v23 :: v_dual_mov_b32 v22, v24
	s_and_saveexec_b32 s6, s33
	s_cbranch_execz .LBB0_26
; %bb.25:
	v_add_nc_u32_e32 v0, 0x55, v255
	v_mov_b32_e32 v22, 0
	s_delay_alu instid0(VALU_DEP_2) | instskip(NEXT) | instid1(VALU_DEP_1)
	v_mul_lo_u32 v0, s12, v0
	v_add3_u32 v21, s0, v57, v0
	s_delay_alu instid0(VALU_DEP_1) | instskip(NEXT) | instid1(VALU_DEP_1)
	v_lshlrev_b64_e32 v[21:22], 4, v[21:22]
	v_add_co_u32 v21, vcc_lo, s2, v21
	s_wait_alu 0xfffd
	s_delay_alu instid0(VALU_DEP_2)
	v_add_co_ci_u32_e32 v22, vcc_lo, s3, v22, vcc_lo
	global_load_b128 v[21:24], v[21:22], off
.LBB0_26:
	s_wait_alu 0xfffe
	s_or_b32 exec_lo, exec_lo, s6
	v_mov_b32_e32 v31, 0
	v_mov_b32_e32 v32, 0
	s_delay_alu instid0(VALU_DEP_2) | instskip(NEXT) | instid1(VALU_DEP_2)
	v_mov_b32_e32 v27, v31
	v_dual_mov_b32 v25, v31 :: v_dual_mov_b32 v26, v32
	v_mov_b32_e32 v28, v32
	s_and_saveexec_b32 s6, s33
	s_cbranch_execz .LBB0_28
; %bb.27:
	v_add_nc_u32_e32 v0, 0x66, v255
	v_mov_b32_e32 v26, 0
	s_delay_alu instid0(VALU_DEP_2) | instskip(NEXT) | instid1(VALU_DEP_1)
	v_mul_lo_u32 v0, s12, v0
	v_add3_u32 v25, s0, v57, v0
	s_delay_alu instid0(VALU_DEP_1) | instskip(NEXT) | instid1(VALU_DEP_1)
	v_lshlrev_b64_e32 v[25:26], 4, v[25:26]
	v_add_co_u32 v25, vcc_lo, s2, v25
	s_wait_alu 0xfffd
	s_delay_alu instid0(VALU_DEP_2)
	v_add_co_ci_u32_e32 v26, vcc_lo, s3, v26, vcc_lo
	global_load_b128 v[25:28], v[25:26], off
.LBB0_28:
	s_wait_alu 0xfffe
	s_or_b32 exec_lo, exec_lo, s6
	v_dual_mov_b32 v29, v31 :: v_dual_mov_b32 v30, v32
	s_and_saveexec_b32 s6, s33
	s_cbranch_execz .LBB0_30
; %bb.29:
	v_add_nc_u32_e32 v0, 0x77, v255
	v_mov_b32_e32 v30, 0
	s_delay_alu instid0(VALU_DEP_2) | instskip(NEXT) | instid1(VALU_DEP_1)
	v_mul_lo_u32 v0, s12, v0
	v_add3_u32 v29, s0, v57, v0
	s_delay_alu instid0(VALU_DEP_1) | instskip(NEXT) | instid1(VALU_DEP_1)
	v_lshlrev_b64_e32 v[29:30], 4, v[29:30]
	v_add_co_u32 v29, vcc_lo, s2, v29
	s_wait_alu 0xfffd
	s_delay_alu instid0(VALU_DEP_2)
	v_add_co_ci_u32_e32 v30, vcc_lo, s3, v30, vcc_lo
	global_load_b128 v[29:32], v[29:30], off
.LBB0_30:
	s_wait_alu 0xfffe
	s_or_b32 exec_lo, exec_lo, s6
	v_mov_b32_e32 v35, 0
	v_mov_b32_e32 v36, 0
	s_delay_alu instid0(VALU_DEP_1)
	v_dual_mov_b32 v40, v36 :: v_dual_mov_b32 v39, v35
	v_dual_mov_b32 v38, v36 :: v_dual_mov_b32 v37, v35
	s_and_saveexec_b32 s6, s33
	s_cbranch_execz .LBB0_32
; %bb.31:
	v_add_nc_u32_e32 v0, 0x88, v255
	v_mov_b32_e32 v34, 0
	s_delay_alu instid0(VALU_DEP_2) | instskip(NEXT) | instid1(VALU_DEP_1)
	v_mul_lo_u32 v0, s12, v0
	v_add3_u32 v33, s0, v57, v0
	s_delay_alu instid0(VALU_DEP_1) | instskip(NEXT) | instid1(VALU_DEP_1)
	v_lshlrev_b64_e32 v[33:34], 4, v[33:34]
	v_add_co_u32 v33, vcc_lo, s2, v33
	s_wait_alu 0xfffd
	s_delay_alu instid0(VALU_DEP_2)
	v_add_co_ci_u32_e32 v34, vcc_lo, s3, v34, vcc_lo
	global_load_b128 v[37:40], v[33:34], off
.LBB0_32:
	s_wait_alu 0xfffe
	s_or_b32 exec_lo, exec_lo, s6
	v_dual_mov_b32 v33, v35 :: v_dual_mov_b32 v34, v36
	s_and_saveexec_b32 s6, s33
	s_cbranch_execz .LBB0_34
; %bb.33:
	v_add_nc_u32_e32 v0, 0x99, v255
	v_mov_b32_e32 v34, 0
	s_delay_alu instid0(VALU_DEP_2) | instskip(NEXT) | instid1(VALU_DEP_1)
	v_mul_lo_u32 v0, s12, v0
	v_add3_u32 v33, s0, v57, v0
	s_delay_alu instid0(VALU_DEP_1) | instskip(NEXT) | instid1(VALU_DEP_1)
	v_lshlrev_b64_e32 v[33:34], 4, v[33:34]
	v_add_co_u32 v33, vcc_lo, s2, v33
	s_wait_alu 0xfffd
	s_delay_alu instid0(VALU_DEP_2)
	v_add_co_ci_u32_e32 v34, vcc_lo, s3, v34, vcc_lo
	global_load_b128 v[33:36], v[33:34], off
.LBB0_34:
	s_wait_alu 0xfffe
	s_or_b32 exec_lo, exec_lo, s6
	v_mov_b32_e32 v43, 0
	v_mov_b32_e32 v44, 0
	s_delay_alu instid0(VALU_DEP_1)
	v_dual_mov_b32 v48, v44 :: v_dual_mov_b32 v47, v43
	v_dual_mov_b32 v46, v44 :: v_dual_mov_b32 v45, v43
	s_and_saveexec_b32 s6, s33
	s_cbranch_execz .LBB0_36
; %bb.35:
	v_add_nc_u32_e32 v0, 0xaa, v255
	v_mov_b32_e32 v42, 0
	s_delay_alu instid0(VALU_DEP_2) | instskip(NEXT) | instid1(VALU_DEP_1)
	v_mul_lo_u32 v0, s12, v0
	v_add3_u32 v41, s0, v57, v0
	s_delay_alu instid0(VALU_DEP_1) | instskip(NEXT) | instid1(VALU_DEP_1)
	v_lshlrev_b64_e32 v[41:42], 4, v[41:42]
	v_add_co_u32 v41, vcc_lo, s2, v41
	s_wait_alu 0xfffd
	s_delay_alu instid0(VALU_DEP_2)
	v_add_co_ci_u32_e32 v42, vcc_lo, s3, v42, vcc_lo
	global_load_b128 v[45:48], v[41:42], off
.LBB0_36:
	;; [unrolled: 42-line block ×3, first 2 shown]
	s_wait_alu 0xfffe
	s_or_b32 exec_lo, exec_lo, s6
	v_dual_mov_b32 v49, v51 :: v_dual_mov_b32 v50, v52
	s_and_saveexec_b32 s6, s33
	s_cbranch_execz .LBB0_42
; %bb.41:
	v_add_nc_u32_e32 v0, 0xdd, v255
	v_mov_b32_e32 v50, 0
	s_delay_alu instid0(VALU_DEP_2) | instskip(NEXT) | instid1(VALU_DEP_1)
	v_mul_lo_u32 v0, s12, v0
	v_add3_u32 v49, s0, v57, v0
	s_delay_alu instid0(VALU_DEP_1) | instskip(NEXT) | instid1(VALU_DEP_1)
	v_lshlrev_b64_e32 v[49:50], 4, v[49:50]
	v_add_co_u32 v49, vcc_lo, s2, v49
	s_wait_alu 0xfffd
	s_delay_alu instid0(VALU_DEP_2)
	v_add_co_ci_u32_e32 v50, vcc_lo, s3, v50, vcc_lo
	global_load_b128 v[49:52], v[49:50], off
.LBB0_42:
	s_wait_alu 0xfffe
	s_or_b32 exec_lo, exec_lo, s6
	v_mov_b32_e32 v59, 0
	v_mov_b32_e32 v60, 0
	scratch_store_b64 off, v[57:58], off    ; 8-byte Folded Spill
	v_dual_mov_b32 v64, v60 :: v_dual_mov_b32 v63, v59
	v_dual_mov_b32 v62, v60 :: v_dual_mov_b32 v61, v59
	s_and_saveexec_b32 s6, s33
	s_cbranch_execz .LBB0_44
; %bb.43:
	scratch_load_b64 v[61:62], off, off     ; 8-byte Folded Reload
	v_add_nc_u32_e32 v0, 0xee, v255
	v_mov_b32_e32 v58, 0
	s_delay_alu instid0(VALU_DEP_2) | instskip(SKIP_1) | instid1(VALU_DEP_1)
	v_mul_lo_u32 v0, s12, v0
	s_wait_loadcnt 0x0
	v_add3_u32 v57, s0, v61, v0
	s_delay_alu instid0(VALU_DEP_1) | instskip(NEXT) | instid1(VALU_DEP_1)
	v_lshlrev_b64_e32 v[57:58], 4, v[57:58]
	v_add_co_u32 v57, vcc_lo, s2, v57
	s_wait_alu 0xfffd
	s_delay_alu instid0(VALU_DEP_2)
	v_add_co_ci_u32_e32 v58, vcc_lo, s3, v58, vcc_lo
	global_load_b128 v[61:64], v[57:58], off
.LBB0_44:
	s_wait_alu 0xfffe
	s_or_b32 exec_lo, exec_lo, s6
	v_dual_mov_b32 v57, v59 :: v_dual_mov_b32 v58, v60
	s_and_saveexec_b32 s6, s33
	s_cbranch_execz .LBB0_46
; %bb.45:
	scratch_load_b64 v[59:60], off, off     ; 8-byte Folded Reload
	v_add_nc_u32_e32 v0, 0xff, v255
	v_mov_b32_e32 v58, 0
	s_delay_alu instid0(VALU_DEP_2) | instskip(SKIP_1) | instid1(VALU_DEP_1)
	v_mul_lo_u32 v0, s12, v0
	s_wait_loadcnt 0x0
	v_add3_u32 v57, s0, v59, v0
	s_delay_alu instid0(VALU_DEP_1) | instskip(NEXT) | instid1(VALU_DEP_1)
	v_lshlrev_b64_e32 v[57:58], 4, v[57:58]
	v_add_co_u32 v57, vcc_lo, s2, v57
	s_wait_alu 0xfffd
	s_delay_alu instid0(VALU_DEP_2)
	v_add_co_ci_u32_e32 v58, vcc_lo, s3, v58, vcc_lo
	global_load_b128 v[57:60], v[57:58], off
.LBB0_46:
	s_wait_alu 0xfffe
	s_or_b32 exec_lo, exec_lo, s6
	v_mov_b32_e32 v67, 0
	v_mov_b32_e32 v68, 0
	s_delay_alu instid0(VALU_DEP_1)
	v_dual_mov_b32 v65, v67 :: v_dual_mov_b32 v66, v68
	s_and_saveexec_b32 s6, s33
	s_cbranch_execz .LBB0_48
; %bb.47:
	scratch_load_b64 v[67:68], off, off     ; 8-byte Folded Reload
	v_add_nc_u32_e32 v0, 0x110, v255
	v_mov_b32_e32 v66, 0
	s_delay_alu instid0(VALU_DEP_2) | instskip(SKIP_1) | instid1(VALU_DEP_1)
	v_mul_lo_u32 v0, s12, v0
	s_wait_loadcnt 0x0
	v_add3_u32 v65, s0, v67, v0
	s_delay_alu instid0(VALU_DEP_1) | instskip(NEXT) | instid1(VALU_DEP_1)
	v_lshlrev_b64_e32 v[65:66], 4, v[65:66]
	v_add_co_u32 v65, vcc_lo, s2, v65
	s_wait_alu 0xfffd
	s_delay_alu instid0(VALU_DEP_2)
	v_add_co_ci_u32_e32 v66, vcc_lo, s3, v66, vcc_lo
	global_load_b128 v[65:68], v[65:66], off
.LBB0_48:
	s_wait_alu 0xfffe
	s_or_b32 exec_lo, exec_lo, s6
	s_wait_loadcnt 0x0
	v_add_f64_e32 v[72:73], v[1:2], v[5:6]
	v_add_f64_e32 v[74:75], v[3:4], v[7:8]
	;; [unrolled: 1-line block ×3, first 2 shown]
	v_add_f64_e64 v[128:129], v[37:38], -v[33:34]
	v_add_f64_e32 v[138:139], v[25:26], v[41:42]
	v_add_f64_e64 v[136:137], v[25:26], -v[41:42]
	v_add_f64_e32 v[134:135], v[29:30], v[45:46]
	;; [unrolled: 2-line block ×6, first 2 shown]
	v_add_f64_e64 v[178:179], v[9:10], -v[57:58]
	s_mov_b32 s6, 0x370991
	s_mov_b32 s18, 0x75d4884
	;; [unrolled: 1-line block ×22, first 2 shown]
	v_add_f64_e32 v[72:73], v[72:73], v[9:10]
	v_add_f64_e32 v[74:75], v[74:75], v[11:12]
	s_mov_b32 s52, 0x4363dd80
	s_mov_b32 s40, 0xacd6c6b4
	;; [unrolled: 1-line block ×19, first 2 shown]
	s_wait_alu 0xfffe
	s_mov_b32 s44, s16
	s_mov_b32 s34, s50
	;; [unrolled: 1-line block ×7, first 2 shown]
	v_mul_f64_e32 v[112:113], s[10:11], v[142:143]
	v_mul_f64_e32 v[114:115], s[52:53], v[140:141]
	;; [unrolled: 1-line block ×10, first 2 shown]
	v_add_f64_e32 v[72:73], v[72:73], v[13:14]
	v_add_f64_e32 v[74:75], v[74:75], v[15:16]
	v_mul_f64_e32 v[160:161], s[18:19], v[142:143]
	v_mul_f64_e32 v[162:163], s[16:17], v[140:141]
	;; [unrolled: 1-line block ×5, first 2 shown]
	s_wait_alu 0xfffe
	v_mul_f64_e32 v[170:171], s[22:23], v[132:133]
	v_mul_f64_e32 v[176:177], s[10:11], v[130:131]
	;; [unrolled: 1-line block ×23, first 2 shown]
	v_add_f64_e32 v[72:73], v[72:73], v[17:18]
	v_add_f64_e32 v[74:75], v[74:75], v[19:20]
	s_delay_alu instid0(VALU_DEP_2) | instskip(NEXT) | instid1(VALU_DEP_2)
	v_add_f64_e32 v[72:73], v[72:73], v[21:22]
	v_add_f64_e32 v[74:75], v[74:75], v[23:24]
	s_delay_alu instid0(VALU_DEP_2) | instskip(NEXT) | instid1(VALU_DEP_2)
	v_add_f64_e32 v[72:73], v[72:73], v[25:26]
	v_add_f64_e32 v[74:75], v[74:75], v[27:28]
	v_add_f64_e64 v[25:26], v[27:28], -v[43:44]
	s_delay_alu instid0(VALU_DEP_3) | instskip(NEXT) | instid1(VALU_DEP_3)
	v_add_f64_e32 v[72:73], v[72:73], v[29:30]
	v_add_f64_e32 v[76:77], v[74:75], v[31:32]
	v_add_f64_e64 v[29:30], v[31:32], -v[47:48]
	s_delay_alu instid0(VALU_DEP_3) | instskip(NEXT) | instid1(VALU_DEP_3)
	v_add_f64_e32 v[74:75], v[72:73], v[37:38]
	v_add_f64_e32 v[76:77], v[76:77], v[39:40]
	;; [unrolled: 1-line block ×3, first 2 shown]
	v_add_f64_e64 v[37:38], v[39:40], -v[35:36]
	s_delay_alu instid0(VALU_DEP_4) | instskip(NEXT) | instid1(VALU_DEP_4)
	v_add_f64_e32 v[39:40], v[74:75], v[33:34]
	v_add_f64_e32 v[35:36], v[76:77], v[35:36]
	;; [unrolled: 1-line block ×7, first 2 shown]
	v_add_f64_e64 v[45:46], v[15:16], -v[63:64]
	v_add_f64_e32 v[47:48], v[11:12], v[59:60]
	s_delay_alu instid0(VALU_DEP_4) | instskip(NEXT) | instid1(VALU_DEP_4)
	v_add_f64_e32 v[39:40], v[39:40], v[41:42]
	v_add_f64_e32 v[41:42], v[35:36], v[43:44]
	v_add_f64_e64 v[35:36], v[23:24], -v[55:56]
	v_add_f64_e32 v[43:44], v[15:16], v[63:64]
	s_delay_alu instid0(VALU_DEP_4) | instskip(NEXT) | instid1(VALU_DEP_4)
	v_add_f64_e32 v[21:22], v[39:40], v[53:54]
	v_add_f64_e32 v[23:24], v[41:42], v[55:56]
	v_add_f64_e32 v[39:40], v[19:20], v[51:52]
	v_add_f64_e64 v[41:42], v[19:20], -v[51:52]
	s_delay_alu instid0(VALU_DEP_4) | instskip(NEXT) | instid1(VALU_DEP_4)
	v_add_f64_e32 v[17:18], v[21:22], v[49:50]
	v_add_f64_e32 v[19:20], v[23:24], v[51:52]
	v_add_f64_e64 v[49:50], v[11:12], -v[59:60]
	s_delay_alu instid0(VALU_DEP_3) | instskip(NEXT) | instid1(VALU_DEP_3)
	v_add_f64_e32 v[13:14], v[17:18], v[61:62]
	v_add_f64_e32 v[15:16], v[19:20], v[63:64]
	v_add_f64_e64 v[17:18], v[5:6], -v[65:66]
	v_add_f64_e64 v[19:20], v[7:8], -v[67:68]
	s_delay_alu instid0(VALU_DEP_4) | instskip(NEXT) | instid1(VALU_DEP_4)
	v_add_f64_e32 v[9:10], v[13:14], v[57:58]
	v_add_f64_e32 v[11:12], v[15:16], v[59:60]
	;; [unrolled: 1-line block ×4, first 2 shown]
	v_mul_f64_e32 v[84:85], s[48:49], v[17:18]
	v_mul_f64_e32 v[86:87], s[38:39], v[17:18]
	;; [unrolled: 1-line block ×3, first 2 shown]
	v_add_f64_e32 v[184:185], v[9:10], v[65:66]
	v_add_f64_e32 v[186:187], v[11:12], v[67:68]
	v_mul_f64_e32 v[9:10], s[6:7], v[13:14]
	v_mul_f64_e32 v[11:12], s[18:19], v[13:14]
	;; [unrolled: 1-line block ×8, first 2 shown]
	v_fma_f64 v[104:105], v[15:16], s[20:21], v[84:85]
	v_fma_f64 v[84:85], v[15:16], s[20:21], -v[84:85]
	v_fma_f64 v[106:107], v[15:16], s[30:31], v[86:87]
	v_fma_f64 v[86:87], v[15:16], s[30:31], -v[86:87]
	;; [unrolled: 2-line block ×3, first 2 shown]
	v_fma_f64 v[57:58], v[19:20], s[46:47], v[9:10]
	v_fma_f64 v[9:10], v[19:20], s[8:9], v[9:10]
	;; [unrolled: 1-line block ×16, first 2 shown]
	v_mul_f64_e32 v[19:20], s[8:9], v[17:18]
	v_mul_f64_e32 v[51:52], s[44:45], v[17:18]
	;; [unrolled: 1-line block ×5, first 2 shown]
	v_add_f64_e32 v[191:192], v[3:4], v[104:105]
	v_add_f64_e32 v[195:196], v[3:4], v[106:107]
	;; [unrolled: 1-line block ×5, first 2 shown]
	v_mul_f64_e32 v[86:87], s[24:25], v[132:133]
	v_mul_f64_e32 v[88:89], s[26:27], v[130:131]
	;; [unrolled: 1-line block ×5, first 2 shown]
	v_add_f64_e32 v[5:6], v[1:2], v[9:10]
	v_add_f64_e32 v[9:10], v[1:2], v[59:60]
	;; [unrolled: 1-line block ×8, first 2 shown]
	v_mul_f64_e32 v[82:83], s[38:39], v[136:137]
	v_fma_f64 v[90:91], v[15:16], s[6:7], v[19:20]
	v_fma_f64 v[19:20], v[15:16], s[6:7], -v[19:20]
	v_fma_f64 v[94:95], v[15:16], s[18:19], -v[51:52]
	;; [unrolled: 1-line block ×4, first 2 shown]
	v_fma_f64 v[92:93], v[15:16], s[18:19], v[51:52]
	v_fma_f64 v[96:97], v[15:16], s[28:29], v[53:54]
	v_fma_f64 v[100:101], v[15:16], s[14:15], v[55:56]
	v_fma_f64 v[110:111], v[15:16], s[26:27], v[17:18]
	v_fma_f64 v[15:16], v[15:16], s[26:27], -v[17:18]
	v_add_f64_e32 v[17:18], v[1:2], v[57:58]
	v_mul_f64_e32 v[74:75], s[20:21], v[152:153]
	scratch_store_b64 off, v[5:6], off offset:24 ; 8-byte Folded Spill
	v_add_f64_e32 v[90:91], v[3:4], v[90:91]
	v_add_f64_e32 v[5:6], v[3:4], v[19:20]
	;; [unrolled: 1-line block ×6, first 2 shown]
	v_mul_f64_e32 v[100:101], s[14:15], v[180:181]
	v_mul_f64_e32 v[110:111], s[42:43], v[148:149]
	scratch_store_b64 off, v[5:6], off offset:40 ; 8-byte Folded Spill
	v_add_f64_e32 v[5:6], v[1:2], v[11:12]
	scratch_store_b64 off, v[5:6], off offset:72 ; 8-byte Folded Spill
	v_add_f64_e32 v[5:6], v[3:4], v[94:95]
	;; [unrolled: 2-line block ×3, first 2 shown]
	v_add_f64_e32 v[21:22], v[1:2], v[63:64]
	scratch_store_b64 off, v[5:6], off offset:176 ; 8-byte Folded Spill
	v_add_f64_e32 v[5:6], v[3:4], v[98:99]
	scratch_store_b64 off, v[5:6], off offset:168 ; 8-byte Folded Spill
	v_add_f64_e32 v[5:6], v[1:2], v[23:24]
	v_add_f64_e32 v[23:24], v[1:2], v[65:66]
	scratch_store_b64 off, v[5:6], off offset:192 ; 8-byte Folded Spill
	v_add_f64_e32 v[5:6], v[3:4], v[102:103]
	v_mul_f64_e32 v[102:103], s[22:23], v[178:179]
	scratch_store_b64 off, v[5:6], off offset:184 ; 8-byte Folded Spill
	v_add_f64_e32 v[5:6], v[1:2], v[67:68]
	v_add_f64_e32 v[0:1], v[1:2], v[13:14]
	v_fma_f64 v[13:14], v[45:46], s[54:55], v[104:105]
	v_mul_f64_e32 v[67:68], s[40:41], v[172:173]
	s_clause 0x1
	scratch_store_b64 off, v[5:6], off offset:208
	scratch_store_b64 off, v[0:1], off offset:224
	v_add_f64_e32 v[5:6], v[3:4], v[84:85]
	v_add_f64_e32 v[0:1], v[3:4], v[15:16]
	v_mul_f64_e32 v[3:4], s[44:45], v[178:179]
	v_mul_f64_e32 v[84:85], s[10:11], v[134:135]
	s_clause 0x1
	scratch_store_b64 off, v[5:6], off offset:200
	scratch_store_b64 off, v[0:1], off offset:216
	v_mul_f64_e32 v[0:1], s[18:19], v[180:181]
	v_mul_f64_e32 v[5:6], s[28:29], v[174:175]
	scratch_store_b64 off, v[3:4], off offset:104 ; 8-byte Folded Spill
	v_fma_f64 v[3:4], v[47:48], s[18:19], v[3:4]
	scratch_store_b64 off, v[0:1], off offset:88 ; 8-byte Folded Spill
	v_fma_f64 v[1:2], v[49:50], s[16:17], v[0:1]
	;; [unrolled: 2-line block ×3, first 2 shown]
	v_mul_f64_e32 v[5:6], s[34:35], v[172:173]
	v_add_f64_e32 v[3:4], v[3:4], v[90:91]
	v_mul_f64_e32 v[90:91], s[42:43], v[128:129]
	v_add_f64_e32 v[1:2], v[1:2], v[17:18]
	scratch_store_b64 off, v[5:6], off offset:120 ; 8-byte Folded Spill
	v_add_f64_e32 v[1:2], v[11:12], v[1:2]
	v_fma_f64 v[11:12], v[43:44], s[28:29], v[5:6]
	v_mul_f64_e32 v[5:6], s[14:15], v[152:153]
	s_delay_alu instid0(VALU_DEP_2) | instskip(SKIP_3) | instid1(VALU_DEP_2)
	v_add_f64_e32 v[3:4], v[11:12], v[3:4]
	scratch_store_b64 off, v[5:6], off offset:128 ; 8-byte Folded Spill
	v_fma_f64 v[11:12], v[41:42], s[56:57], v[5:6]
	v_mul_f64_e32 v[5:6], s[22:23], v[148:149]
	v_add_f64_e32 v[1:2], v[11:12], v[1:2]
	scratch_store_b64 off, v[5:6], off offset:136 ; 8-byte Folded Spill
	v_fma_f64 v[11:12], v[39:40], s[14:15], v[5:6]
	v_mul_f64_e32 v[5:6], s[20:21], v[142:143]
	s_delay_alu instid0(VALU_DEP_2) | instskip(SKIP_3) | instid1(VALU_DEP_2)
	v_add_f64_e32 v[3:4], v[11:12], v[3:4]
	scratch_store_b64 off, v[5:6], off offset:144 ; 8-byte Folded Spill
	v_fma_f64 v[11:12], v[35:36], s[36:37], v[5:6]
	v_mul_f64_e32 v[5:6], s[48:49], v[140:141]
	v_add_f64_e32 v[1:2], v[11:12], v[1:2]
	scratch_store_b64 off, v[5:6], off offset:152 ; 8-byte Folded Spill
	v_fma_f64 v[11:12], v[27:28], s[20:21], v[5:6]
	v_mul_f64_e32 v[5:6], s[30:31], v[138:139]
	s_delay_alu instid0(VALU_DEP_2) | instskip(NEXT) | instid1(VALU_DEP_2)
	v_add_f64_e32 v[3:4], v[11:12], v[3:4]
	v_fma_f64 v[11:12], v[25:26], s[54:55], v[5:6]
	scratch_store_b64 off, v[5:6], off offset:160 ; 8-byte Folded Spill
	v_mul_f64_e32 v[6:7], s[42:43], v[140:141]
	v_add_f64_e32 v[1:2], v[11:12], v[1:2]
	v_fma_f64 v[11:12], v[31:32], s[30:31], v[82:83]
	s_delay_alu instid0(VALU_DEP_1) | instskip(SKIP_1) | instid1(VALU_DEP_1)
	v_add_f64_e32 v[3:4], v[11:12], v[3:4]
	v_fma_f64 v[11:12], v[29:30], s[52:53], v[84:85]
	v_add_f64_e32 v[1:2], v[11:12], v[1:2]
	v_fma_f64 v[11:12], v[33:34], s[10:11], v[86:87]
	s_delay_alu instid0(VALU_DEP_1) | instskip(SKIP_1) | instid1(VALU_DEP_1)
	v_add_f64_e32 v[3:4], v[11:12], v[3:4]
	v_fma_f64 v[11:12], v[37:38], s[40:41], v[88:89]
	v_add_f64_e32 v[63:64], v[11:12], v[1:2]
	v_fma_f64 v[11:12], v[72:73], s[26:27], v[90:91]
	v_mul_f64_e32 v[0:1], s[8:9], v[172:173]
	s_delay_alu instid0(VALU_DEP_2) | instskip(SKIP_2) | instid1(VALU_DEP_2)
	v_add_f64_e32 v[65:66], v[11:12], v[3:4]
	v_fma_f64 v[11:12], v[49:50], s[56:57], v[100:101]
	v_mul_f64_e32 v[4:5], s[26:27], v[142:143]
	v_add_f64_e32 v[9:10], v[11:12], v[9:10]
	v_fma_f64 v[11:12], v[47:48], s[14:15], v[102:103]
	s_delay_alu instid0(VALU_DEP_3) | instskip(SKIP_1) | instid1(VALU_DEP_4)
	v_fma_f64 v[2:3], v[35:36], s[40:41], v[4:5]
	v_fma_f64 v[4:5], v[35:36], s[42:43], v[4:5]
	v_add_f64_e32 v[9:10], v[13:14], v[9:10]
	s_delay_alu instid0(VALU_DEP_4) | instskip(SKIP_2) | instid1(VALU_DEP_2)
	v_add_f64_e32 v[11:12], v[11:12], v[19:20]
	v_fma_f64 v[13:14], v[43:44], s[30:31], v[106:107]
	v_fma_f64 v[19:20], v[47:48], s[26:27], v[219:220]
	v_add_f64_e32 v[11:12], v[13:14], v[11:12]
	v_fma_f64 v[13:14], v[41:42], s[40:41], v[108:109]
	s_delay_alu instid0(VALU_DEP_3) | instskip(SKIP_1) | instid1(VALU_DEP_3)
	v_add_f64_e32 v[19:20], v[19:20], v[189:190]
	v_fma_f64 v[189:190], v[45:46], s[44:45], v[249:250]
	v_add_f64_e32 v[9:10], v[13:14], v[9:10]
	v_fma_f64 v[13:14], v[39:40], s[26:27], v[110:111]
	s_delay_alu instid0(VALU_DEP_1) | instskip(SKIP_1) | instid1(VALU_DEP_1)
	v_add_f64_e32 v[11:12], v[13:14], v[11:12]
	v_fma_f64 v[13:14], v[35:36], s[24:25], v[112:113]
	v_add_f64_e32 v[9:10], v[13:14], v[9:10]
	v_fma_f64 v[13:14], v[27:28], s[10:11], v[114:115]
	s_delay_alu instid0(VALU_DEP_1) | instskip(SKIP_1) | instid1(VALU_DEP_1)
	;; [unrolled: 5-line block ×4, first 2 shown]
	v_add_f64_e32 v[11:12], v[13:14], v[11:12]
	v_fma_f64 v[13:14], v[37:38], s[8:9], v[124:125]
	v_add_f64_e32 v[154:155], v[13:14], v[9:10]
	v_fma_f64 v[13:14], v[72:73], s[6:7], v[126:127]
	v_mul_f64_e32 v[8:9], s[14:15], v[138:139]
	s_delay_alu instid0(VALU_DEP_2) | instskip(SKIP_2) | instid1(VALU_DEP_2)
	v_add_f64_e32 v[156:157], v[13:14], v[11:12]
	v_fma_f64 v[13:14], v[49:50], s[54:55], v[144:145]
	v_mul_f64_e32 v[10:11], s[56:57], v[136:137]
	v_add_f64_e32 v[13:14], v[13:14], v[146:147]
	v_mul_f64_e32 v[146:147], s[38:39], v[178:179]
	s_delay_alu instid0(VALU_DEP_1) | instskip(NEXT) | instid1(VALU_DEP_1)
	v_fma_f64 v[15:16], v[47:48], s[30:31], v[146:147]
	v_add_f64_e32 v[15:16], v[15:16], v[150:151]
	v_mul_f64_e32 v[150:151], s[26:27], v[174:175]
	s_delay_alu instid0(VALU_DEP_1) | instskip(NEXT) | instid1(VALU_DEP_1)
	v_fma_f64 v[17:18], v[45:46], s[42:43], v[150:151]
	v_add_f64_e32 v[13:14], v[17:18], v[13:14]
	v_fma_f64 v[17:18], v[43:44], s[26:27], v[67:68]
	s_delay_alu instid0(VALU_DEP_1) | instskip(SKIP_1) | instid1(VALU_DEP_1)
	v_add_f64_e32 v[15:16], v[17:18], v[15:16]
	v_fma_f64 v[17:18], v[41:42], s[48:49], v[74:75]
	v_add_f64_e32 v[13:14], v[17:18], v[13:14]
	v_fma_f64 v[17:18], v[39:40], s[20:21], v[158:159]
	s_delay_alu instid0(VALU_DEP_1) | instskip(SKIP_1) | instid1(VALU_DEP_1)
	v_add_f64_e32 v[15:16], v[17:18], v[15:16]
	;; [unrolled: 5-line block ×5, first 2 shown]
	v_fma_f64 v[17:18], v[37:38], s[52:53], v[176:177]
	v_add_f64_e32 v[59:60], v[17:18], v[13:14]
	v_fma_f64 v[17:18], v[72:73], s[10:11], v[182:183]
	v_mul_f64_e32 v[12:13], s[6:7], v[134:135]
	s_delay_alu instid0(VALU_DEP_2) | instskip(SKIP_1) | instid1(VALU_DEP_1)
	v_add_f64_e32 v[61:62], v[17:18], v[15:16]
	v_fma_f64 v[17:18], v[49:50], s[40:41], v[217:218]
	v_add_f64_e32 v[17:18], v[17:18], v[21:22]
	v_fma_f64 v[21:22], v[45:46], s[48:49], v[221:222]
	s_delay_alu instid0(VALU_DEP_1) | instskip(SKIP_1) | instid1(VALU_DEP_1)
	v_add_f64_e32 v[17:18], v[21:22], v[17:18]
	v_fma_f64 v[21:22], v[43:44], s[20:21], v[223:224]
	v_add_f64_e32 v[19:20], v[21:22], v[19:20]
	v_fma_f64 v[21:22], v[41:42], s[8:9], v[225:226]
	s_delay_alu instid0(VALU_DEP_1) | instskip(SKIP_1) | instid1(VALU_DEP_1)
	;; [unrolled: 5-line block ×5, first 2 shown]
	v_add_f64_e32 v[17:18], v[21:22], v[17:18]
	v_fma_f64 v[21:22], v[33:34], s[30:31], v[239:240]
	v_add_f64_e32 v[19:20], v[21:22], v[19:20]
	v_fma_f64 v[21:22], v[37:38], s[44:45], v[241:242]
	s_delay_alu instid0(VALU_DEP_1) | instskip(SKIP_2) | instid1(VALU_DEP_2)
	v_add_f64_e32 v[55:56], v[21:22], v[17:18]
	v_fma_f64 v[21:22], v[72:73], s[18:19], v[243:244]
	v_mul_f64_e32 v[16:17], s[30:31], v[130:131]
	v_add_f64_e32 v[57:58], v[21:22], v[19:20]
	v_fma_f64 v[21:22], v[49:50], s[24:25], v[245:246]
	s_delay_alu instid0(VALU_DEP_3) | instskip(NEXT) | instid1(VALU_DEP_2)
	v_fma_f64 v[18:19], v[37:38], s[54:55], v[16:17]
	v_add_f64_e32 v[21:22], v[21:22], v[23:24]
	v_fma_f64 v[23:24], v[47:48], s[10:11], v[247:248]
	s_delay_alu instid0(VALU_DEP_2) | instskip(NEXT) | instid1(VALU_DEP_2)
	v_add_f64_e32 v[21:22], v[189:190], v[21:22]
	v_add_f64_e32 v[23:24], v[23:24], v[191:192]
	v_fma_f64 v[189:190], v[43:44], s[18:19], v[251:252]
	s_delay_alu instid0(VALU_DEP_1) | instskip(SKIP_1) | instid1(VALU_DEP_1)
	v_add_f64_e32 v[23:24], v[189:190], v[23:24]
	v_fma_f64 v[189:190], v[41:42], s[50:51], v[253:254]
	v_add_f64_e32 v[21:22], v[189:190], v[21:22]
	v_fma_f64 v[189:190], v[39:40], s[28:29], v[69:70]
	v_fma_f64 v[69:70], v[39:40], s[28:29], -v[69:70]
	s_delay_alu instid0(VALU_DEP_3) | instskip(NEXT) | instid1(VALU_DEP_3)
	v_add_f64_e32 v[2:3], v[2:3], v[21:22]
	v_add_f64_e32 v[23:24], v[189:190], v[23:24]
	v_fma_f64 v[21:22], v[27:28], s[26:27], v[6:7]
	s_delay_alu instid0(VALU_DEP_1) | instskip(SKIP_1) | instid1(VALU_DEP_1)
	v_add_f64_e32 v[21:22], v[21:22], v[23:24]
	v_fma_f64 v[23:24], v[25:26], s[22:23], v[8:9]
	v_add_f64_e32 v[2:3], v[23:24], v[2:3]
	v_fma_f64 v[23:24], v[31:32], s[14:15], v[10:11]
	s_delay_alu instid0(VALU_DEP_1) | instskip(SKIP_1) | instid1(VALU_DEP_1)
	v_add_f64_e32 v[21:22], v[23:24], v[21:22]
	v_fma_f64 v[23:24], v[29:30], s[46:47], v[12:13]
	v_add_f64_e32 v[2:3], v[23:24], v[2:3]
	v_mul_f64_e32 v[23:24], s[8:9], v[132:133]
	s_delay_alu instid0(VALU_DEP_2) | instskip(NEXT) | instid1(VALU_DEP_2)
	v_add_f64_e32 v[51:52], v[18:19], v[2:3]
	v_fma_f64 v[14:15], v[33:34], s[6:7], v[23:24]
	v_mul_f64_e32 v[2:3], s[38:39], v[128:129]
	s_delay_alu instid0(VALU_DEP_2) | instskip(NEXT) | instid1(VALU_DEP_2)
	v_add_f64_e32 v[14:15], v[14:15], v[21:22]
	v_fma_f64 v[18:19], v[72:73], s[30:31], v[2:3]
	v_fma_f64 v[20:21], v[43:44], s[6:7], v[0:1]
	v_fma_f64 v[0:1], v[43:44], s[6:7], -v[0:1]
	v_fma_f64 v[2:3], v[72:73], s[30:31], -v[2:3]
	s_delay_alu instid0(VALU_DEP_4) | instskip(SKIP_1) | instid1(VALU_DEP_1)
	v_add_f64_e32 v[53:54], v[18:19], v[14:15]
	v_mul_f64_e32 v[14:15], s[20:21], v[180:181]
	v_fma_f64 v[18:19], v[49:50], s[48:49], v[14:15]
	v_fma_f64 v[14:15], v[49:50], s[36:37], v[14:15]
	s_delay_alu instid0(VALU_DEP_2) | instskip(SKIP_1) | instid1(VALU_DEP_3)
	v_add_f64_e32 v[18:19], v[18:19], v[193:194]
	v_mul_f64_e32 v[193:194], s[36:37], v[178:179]
	v_add_f64_e32 v[14:15], v[14:15], v[197:198]
	s_delay_alu instid0(VALU_DEP_2) | instskip(NEXT) | instid1(VALU_DEP_1)
	v_fma_f64 v[189:190], v[47:48], s[20:21], v[193:194]
	v_add_f64_e32 v[189:190], v[189:190], v[195:196]
	v_mul_f64_e32 v[195:196], s[6:7], v[174:175]
	s_delay_alu instid0(VALU_DEP_2) | instskip(NEXT) | instid1(VALU_DEP_2)
	v_add_f64_e32 v[20:21], v[20:21], v[189:190]
	v_fma_f64 v[191:192], v[45:46], s[46:47], v[195:196]
	v_mul_f64_e32 v[188:189], s[10:11], v[152:153]
	s_delay_alu instid0(VALU_DEP_2) | instskip(NEXT) | instid1(VALU_DEP_2)
	v_add_f64_e32 v[18:19], v[191:192], v[18:19]
	v_fma_f64 v[190:191], v[41:42], s[52:53], v[188:189]
	s_delay_alu instid0(VALU_DEP_1) | instskip(SKIP_1) | instid1(VALU_DEP_1)
	v_add_f64_e32 v[18:19], v[190:191], v[18:19]
	v_mul_f64_e32 v[190:191], s[24:25], v[148:149]
	v_fma_f64 v[98:99], v[39:40], s[10:11], v[190:191]
	s_delay_alu instid0(VALU_DEP_1) | instskip(SKIP_1) | instid1(VALU_DEP_1)
	v_add_f64_e32 v[20:21], v[98:99], v[20:21]
	v_mul_f64_e32 v[98:99], s[14:15], v[142:143]
	;; [unrolled: 4-line block ×7, first 2 shown]
	v_fma_f64 v[213:214], v[33:34], s[26:27], v[76:77]
	v_fma_f64 v[76:77], v[33:34], s[26:27], -v[76:77]
	s_delay_alu instid0(VALU_DEP_2) | instskip(SKIP_1) | instid1(VALU_DEP_1)
	v_add_f64_e32 v[20:21], v[213:214], v[20:21]
	v_mul_f64_e32 v[213:214], s[28:29], v[130:131]
	v_fma_f64 v[78:79], v[37:38], s[34:35], v[213:214]
	s_delay_alu instid0(VALU_DEP_1) | instskip(SKIP_1) | instid1(VALU_DEP_1)
	v_add_f64_e32 v[18:19], v[78:79], v[18:19]
	v_mul_f64_e32 v[78:79], s[50:51], v[128:129]
	v_fma_f64 v[80:81], v[72:73], s[28:29], v[78:79]
	v_fma_f64 v[78:79], v[72:73], s[28:29], -v[78:79]
	s_delay_alu instid0(VALU_DEP_2) | instskip(SKIP_2) | instid1(VALU_DEP_2)
	v_add_f64_e32 v[20:21], v[80:81], v[20:21]
	v_fma_f64 v[80:81], v[47:48], s[20:21], -v[193:194]
	v_fma_f64 v[192:193], v[45:46], s[8:9], v[195:196]
	v_add_f64_e32 v[80:81], v[80:81], v[199:200]
	s_delay_alu instid0(VALU_DEP_2) | instskip(NEXT) | instid1(VALU_DEP_2)
	v_add_f64_e32 v[14:15], v[192:193], v[14:15]
	v_add_f64_e32 v[0:1], v[0:1], v[80:81]
	v_fma_f64 v[80:81], v[41:42], s[24:25], v[188:189]
	s_delay_alu instid0(VALU_DEP_1) | instskip(SKIP_1) | instid1(VALU_DEP_1)
	v_add_f64_e32 v[14:15], v[80:81], v[14:15]
	v_fma_f64 v[80:81], v[39:40], s[10:11], -v[190:191]
	v_add_f64_e32 v[0:1], v[80:81], v[0:1]
	v_fma_f64 v[80:81], v[35:36], s[56:57], v[98:99]
	s_delay_alu instid0(VALU_DEP_1) | instskip(SKIP_1) | instid1(VALU_DEP_1)
	v_add_f64_e32 v[14:15], v[80:81], v[14:15]
	v_fma_f64 v[80:81], v[27:28], s[14:15], -v[96:97]
	v_add_f64_e32 v[0:1], v[80:81], v[0:1]
	v_fma_f64 v[80:81], v[25:26], s[44:45], v[94:95]
	s_delay_alu instid0(VALU_DEP_1) | instskip(SKIP_2) | instid1(VALU_DEP_2)
	v_add_f64_e32 v[14:15], v[80:81], v[14:15]
	v_fma_f64 v[80:81], v[31:32], s[18:19], -v[215:216]
	v_mul_f64_e32 v[215:216], s[20:21], v[130:131]
	v_add_f64_e32 v[0:1], v[80:81], v[0:1]
	v_fma_f64 v[80:81], v[29:30], s[42:43], v[92:93]
	s_delay_alu instid0(VALU_DEP_2) | instskip(NEXT) | instid1(VALU_DEP_2)
	v_add_f64_e32 v[0:1], v[76:77], v[0:1]
	v_add_f64_e32 v[14:15], v[80:81], v[14:15]
	v_fma_f64 v[76:77], v[37:38], s[50:51], v[213:214]
	v_mul_f64_e32 v[80:81], s[14:15], v[174:175]
	v_mul_f64_e32 v[213:214], s[16:17], v[132:133]
	;; [unrolled: 1-line block ×3, first 2 shown]
	v_add_f64_e32 v[195:196], v[78:79], v[0:1]
	v_mul_f64_e32 v[0:1], s[28:29], v[180:181]
	v_add_f64_e32 v[193:194], v[76:77], v[14:15]
	v_mul_f64_e32 v[76:77], s[50:51], v[178:179]
	v_fma_f64 v[92:93], v[45:46], s[56:57], v[80:81]
	s_delay_alu instid0(VALU_DEP_4) | instskip(SKIP_1) | instid1(VALU_DEP_4)
	v_fma_f64 v[14:15], v[49:50], s[34:35], v[0:1]
	v_fma_f64 v[0:1], v[49:50], s[50:51], v[0:1]
	;; [unrolled: 1-line block ×3, first 2 shown]
	v_fma_f64 v[76:77], v[47:48], s[28:29], -v[76:77]
	s_delay_alu instid0(VALU_DEP_4) | instskip(SKIP_1) | instid1(VALU_DEP_4)
	v_add_f64_e32 v[14:15], v[14:15], v[201:202]
	v_mul_f64_e32 v[201:202], s[42:43], v[136:137]
	v_add_f64_e32 v[78:79], v[78:79], v[203:204]
	v_mul_f64_e32 v[203:204], s[18:19], v[134:135]
	v_add_f64_e32 v[0:1], v[0:1], v[205:206]
	v_add_f64_e32 v[76:77], v[76:77], v[207:208]
	v_mul_f64_e32 v[136:137], s[50:51], v[136:137]
	v_mul_f64_e32 v[134:135], s[20:21], v[134:135]
	v_add_f64_e32 v[14:15], v[92:93], v[14:15]
	v_mul_f64_e32 v[92:93], s[22:23], v[172:173]
	s_delay_alu instid0(VALU_DEP_1) | instskip(NEXT) | instid1(VALU_DEP_1)
	v_fma_f64 v[94:95], v[43:44], s[14:15], v[92:93]
	v_add_f64_e32 v[78:79], v[94:95], v[78:79]
	v_mul_f64_e32 v[94:95], s[30:31], v[152:153]
	s_delay_alu instid0(VALU_DEP_1) | instskip(NEXT) | instid1(VALU_DEP_1)
	v_fma_f64 v[96:97], v[41:42], s[38:39], v[94:95]
	v_add_f64_e32 v[14:15], v[96:97], v[14:15]
	v_mul_f64_e32 v[96:97], s[54:55], v[148:149]
	s_delay_alu instid0(VALU_DEP_1) | instskip(NEXT) | instid1(VALU_DEP_1)
	v_fma_f64 v[98:99], v[39:40], s[30:31], v[96:97]
	v_add_f64_e32 v[78:79], v[98:99], v[78:79]
	v_mul_f64_e32 v[98:99], s[6:7], v[142:143]
	s_delay_alu instid0(VALU_DEP_1) | instskip(NEXT) | instid1(VALU_DEP_1)
	v_fma_f64 v[188:189], v[35:36], s[46:47], v[98:99]
	v_add_f64_e32 v[14:15], v[188:189], v[14:15]
	v_mul_f64_e32 v[188:189], s[8:9], v[140:141]
	v_mul_f64_e32 v[140:141], s[38:39], v[140:141]
	s_delay_alu instid0(VALU_DEP_2) | instskip(NEXT) | instid1(VALU_DEP_1)
	v_fma_f64 v[190:191], v[27:28], s[6:7], v[188:189]
	v_add_f64_e32 v[78:79], v[190:191], v[78:79]
	v_mul_f64_e32 v[190:191], s[26:27], v[138:139]
	v_mul_f64_e32 v[138:139], s[28:29], v[138:139]
	s_delay_alu instid0(VALU_DEP_2) | instskip(NEXT) | instid1(VALU_DEP_1)
	v_fma_f64 v[197:198], v[25:26], s[40:41], v[190:191]
	v_add_f64_e32 v[14:15], v[197:198], v[14:15]
	v_fma_f64 v[197:198], v[31:32], s[26:27], v[201:202]
	s_delay_alu instid0(VALU_DEP_1) | instskip(SKIP_1) | instid1(VALU_DEP_1)
	v_add_f64_e32 v[78:79], v[197:198], v[78:79]
	v_fma_f64 v[197:198], v[29:30], s[44:45], v[203:204]
	v_add_f64_e32 v[14:15], v[197:198], v[14:15]
	v_fma_f64 v[197:198], v[33:34], s[18:19], v[213:214]
	s_delay_alu instid0(VALU_DEP_1) | instskip(SKIP_1) | instid1(VALU_DEP_1)
	v_add_f64_e32 v[78:79], v[197:198], v[78:79]
	v_fma_f64 v[197:198], v[37:38], s[36:37], v[215:216]
	v_add_f64_e32 v[197:198], v[197:198], v[14:15]
	v_mul_f64_e32 v[14:15], s[48:49], v[128:129]
	s_delay_alu instid0(VALU_DEP_1) | instskip(SKIP_1) | instid1(VALU_DEP_2)
	v_fma_f64 v[199:200], v[72:73], s[20:21], v[14:15]
	v_fma_f64 v[14:15], v[72:73], s[20:21], -v[14:15]
	v_add_f64_e32 v[199:200], v[199:200], v[78:79]
	v_fma_f64 v[78:79], v[45:46], s[22:23], v[80:81]
	v_mul_f64_e32 v[80:81], s[10:11], v[174:175]
	s_delay_alu instid0(VALU_DEP_2) | instskip(SKIP_1) | instid1(VALU_DEP_3)
	v_add_f64_e32 v[0:1], v[78:79], v[0:1]
	v_fma_f64 v[78:79], v[43:44], s[14:15], -v[92:93]
	v_fma_f64 v[92:93], v[45:46], s[52:53], v[80:81]
	s_delay_alu instid0(VALU_DEP_2) | instskip(SKIP_1) | instid1(VALU_DEP_1)
	v_add_f64_e32 v[76:77], v[78:79], v[76:77]
	v_fma_f64 v[78:79], v[41:42], s[54:55], v[94:95]
	v_add_f64_e32 v[0:1], v[78:79], v[0:1]
	v_fma_f64 v[78:79], v[39:40], s[30:31], -v[96:97]
	s_delay_alu instid0(VALU_DEP_1) | instskip(SKIP_1) | instid1(VALU_DEP_1)
	v_add_f64_e32 v[76:77], v[78:79], v[76:77]
	v_fma_f64 v[78:79], v[35:36], s[8:9], v[98:99]
	v_add_f64_e32 v[0:1], v[78:79], v[0:1]
	v_fma_f64 v[78:79], v[27:28], s[6:7], -v[188:189]
	s_delay_alu instid0(VALU_DEP_1) | instskip(SKIP_1) | instid1(VALU_DEP_1)
	v_add_f64_e32 v[76:77], v[78:79], v[76:77]
	v_fma_f64 v[78:79], v[25:26], s[42:43], v[190:191]
	v_add_f64_e32 v[0:1], v[78:79], v[0:1]
	v_fma_f64 v[78:79], v[31:32], s[26:27], -v[201:202]
	s_delay_alu instid0(VALU_DEP_1) | instskip(SKIP_1) | instid1(VALU_DEP_1)
	v_add_f64_e32 v[76:77], v[78:79], v[76:77]
	v_fma_f64 v[78:79], v[29:30], s[16:17], v[203:204]
	v_add_f64_e32 v[0:1], v[78:79], v[0:1]
	v_fma_f64 v[78:79], v[33:34], s[18:19], -v[213:214]
	s_delay_alu instid0(VALU_DEP_1) | instskip(SKIP_1) | instid1(VALU_DEP_2)
	v_add_f64_e32 v[76:77], v[78:79], v[76:77]
	v_fma_f64 v[78:79], v[37:38], s[48:49], v[215:216]
	v_add_f64_e32 v[203:204], v[14:15], v[76:77]
	s_delay_alu instid0(VALU_DEP_2) | instskip(SKIP_2) | instid1(VALU_DEP_2)
	v_add_f64_e32 v[201:202], v[78:79], v[0:1]
	v_mul_f64_e32 v[0:1], s[6:7], v[180:181]
	v_mul_f64_e32 v[76:77], s[46:47], v[178:179]
	v_fma_f64 v[14:15], v[49:50], s[8:9], v[0:1]
	s_delay_alu instid0(VALU_DEP_2) | instskip(SKIP_1) | instid1(VALU_DEP_3)
	v_fma_f64 v[78:79], v[47:48], s[6:7], v[76:77]
	v_fma_f64 v[0:1], v[49:50], s[46:47], v[0:1]
	v_add_f64_e32 v[14:15], v[14:15], v[209:210]
	s_delay_alu instid0(VALU_DEP_3) | instskip(NEXT) | instid1(VALU_DEP_2)
	v_add_f64_e32 v[78:79], v[78:79], v[211:212]
	v_add_f64_e32 v[14:15], v[92:93], v[14:15]
	v_mul_f64_e32 v[92:93], s[24:25], v[172:173]
	s_delay_alu instid0(VALU_DEP_1) | instskip(NEXT) | instid1(VALU_DEP_1)
	v_fma_f64 v[94:95], v[43:44], s[10:11], v[92:93]
	v_add_f64_e32 v[78:79], v[94:95], v[78:79]
	v_mul_f64_e32 v[94:95], s[18:19], v[152:153]
	s_delay_alu instid0(VALU_DEP_1) | instskip(NEXT) | instid1(VALU_DEP_1)
	v_fma_f64 v[96:97], v[41:42], s[44:45], v[94:95]
	v_add_f64_e32 v[14:15], v[96:97], v[14:15]
	v_mul_f64_e32 v[96:97], s[16:17], v[148:149]
	v_mul_f64_e32 v[148:149], s[56:57], v[128:129]
	s_delay_alu instid0(VALU_DEP_2) | instskip(NEXT) | instid1(VALU_DEP_1)
	v_fma_f64 v[98:99], v[39:40], s[18:19], v[96:97]
	v_add_f64_e32 v[78:79], v[98:99], v[78:79]
	v_mul_f64_e32 v[98:99], s[30:31], v[142:143]
	s_delay_alu instid0(VALU_DEP_1) | instskip(NEXT) | instid1(VALU_DEP_1)
	v_fma_f64 v[142:143], v[35:36], s[54:55], v[98:99]
	v_add_f64_e32 v[14:15], v[142:143], v[14:15]
	v_fma_f64 v[142:143], v[27:28], s[30:31], v[140:141]
	s_delay_alu instid0(VALU_DEP_1) | instskip(SKIP_1) | instid1(VALU_DEP_1)
	v_add_f64_e32 v[78:79], v[142:143], v[78:79]
	v_fma_f64 v[142:143], v[25:26], s[34:35], v[138:139]
	v_add_f64_e32 v[14:15], v[142:143], v[14:15]
	v_fma_f64 v[142:143], v[31:32], s[28:29], v[136:137]
	s_delay_alu instid0(VALU_DEP_1) | instskip(SKIP_1) | instid1(VALU_DEP_1)
	v_add_f64_e32 v[78:79], v[142:143], v[78:79]
	;; [unrolled: 5-line block ×3, first 2 shown]
	v_mul_f64_e32 v[142:143], s[14:15], v[130:131]
	v_fma_f64 v[128:129], v[37:38], s[22:23], v[142:143]
	s_delay_alu instid0(VALU_DEP_1) | instskip(SKIP_1) | instid1(VALU_DEP_1)
	v_add_f64_e32 v[128:129], v[128:129], v[14:15]
	v_fma_f64 v[14:15], v[72:73], s[14:15], v[148:149]
	v_add_f64_e32 v[130:131], v[14:15], v[78:79]
	scratch_load_b64 v[14:15], off, off offset:224 th:TH_LOAD_LU ; 8-byte Folded Reload
	v_fma_f64 v[78:79], v[72:73], s[14:15], -v[148:149]
	s_wait_loadcnt 0x0
	v_add_f64_e32 v[0:1], v[0:1], v[14:15]
	v_fma_f64 v[14:15], v[47:48], s[6:7], -v[76:77]
	scratch_load_b64 v[76:77], off, off offset:216 th:TH_LOAD_LU ; 8-byte Folded Reload
	s_wait_loadcnt 0x0
	v_add_f64_e32 v[14:15], v[14:15], v[76:77]
	v_fma_f64 v[76:77], v[45:46], s[24:25], v[80:81]
	s_delay_alu instid0(VALU_DEP_1) | instskip(SKIP_1) | instid1(VALU_DEP_1)
	v_add_f64_e32 v[0:1], v[76:77], v[0:1]
	v_fma_f64 v[76:77], v[43:44], s[10:11], -v[92:93]
	v_add_f64_e32 v[14:15], v[76:77], v[14:15]
	v_fma_f64 v[76:77], v[41:42], s[16:17], v[94:95]
	s_delay_alu instid0(VALU_DEP_1) | instskip(SKIP_1) | instid1(VALU_DEP_1)
	v_add_f64_e32 v[0:1], v[76:77], v[0:1]
	v_fma_f64 v[76:77], v[39:40], s[18:19], -v[96:97]
	;; [unrolled: 5-line block ×5, first 2 shown]
	v_add_f64_e32 v[14:15], v[76:77], v[14:15]
	v_fma_f64 v[76:77], v[37:38], s[56:57], v[142:143]
	s_delay_alu instid0(VALU_DEP_2)
	v_add_f64_e32 v[134:135], v[78:79], v[14:15]
	scratch_load_b64 v[14:15], off, off offset:208 th:TH_LOAD_LU ; 8-byte Folded Reload
	v_add_f64_e32 v[132:133], v[76:77], v[0:1]
	scratch_load_b64 v[76:77], off, off offset:200 th:TH_LOAD_LU ; 8-byte Folded Reload
	v_fma_f64 v[0:1], v[49:50], s[52:53], v[245:246]
	s_wait_loadcnt 0x1
	s_delay_alu instid0(VALU_DEP_1) | instskip(SKIP_2) | instid1(VALU_DEP_1)
	v_add_f64_e32 v[0:1], v[0:1], v[14:15]
	v_fma_f64 v[14:15], v[47:48], s[10:11], -v[247:248]
	s_wait_loadcnt 0x0
	v_add_f64_e32 v[14:15], v[14:15], v[76:77]
	v_fma_f64 v[76:77], v[45:46], s[16:17], v[249:250]
	s_delay_alu instid0(VALU_DEP_1) | instskip(SKIP_1) | instid1(VALU_DEP_1)
	v_add_f64_e32 v[0:1], v[76:77], v[0:1]
	v_fma_f64 v[76:77], v[43:44], s[18:19], -v[251:252]
	v_add_f64_e32 v[14:15], v[76:77], v[14:15]
	v_fma_f64 v[76:77], v[41:42], s[34:35], v[253:254]
	s_delay_alu instid0(VALU_DEP_2) | instskip(NEXT) | instid1(VALU_DEP_2)
	v_add_f64_e32 v[14:15], v[69:70], v[14:15]
	v_add_f64_e32 v[0:1], v[76:77], v[0:1]
	s_delay_alu instid0(VALU_DEP_1) | instskip(SKIP_2) | instid1(VALU_DEP_2)
	v_add_f64_e32 v[0:1], v[4:5], v[0:1]
	v_fma_f64 v[4:5], v[27:28], s[26:27], -v[6:7]
	v_fma_f64 v[6:7], v[25:26], s[56:57], v[8:9]
	v_add_f64_e32 v[4:5], v[4:5], v[14:15]
	s_delay_alu instid0(VALU_DEP_2) | instskip(SKIP_1) | instid1(VALU_DEP_1)
	v_add_f64_e32 v[0:1], v[6:7], v[0:1]
	v_fma_f64 v[6:7], v[31:32], s[14:15], -v[10:11]
	v_add_f64_e32 v[4:5], v[6:7], v[4:5]
	v_fma_f64 v[6:7], v[29:30], s[8:9], v[12:13]
	s_delay_alu instid0(VALU_DEP_1) | instskip(SKIP_1) | instid1(VALU_DEP_1)
	v_add_f64_e32 v[0:1], v[6:7], v[0:1]
	v_fma_f64 v[6:7], v[33:34], s[6:7], -v[23:24]
	v_add_f64_e32 v[4:5], v[6:7], v[4:5]
	v_fma_f64 v[6:7], v[37:38], s[38:39], v[16:17]
	s_delay_alu instid0(VALU_DEP_2)
	v_add_f64_e32 v[138:139], v[2:3], v[4:5]
	s_clause 0x1
	scratch_load_b64 v[2:3], off, off offset:192 th:TH_LOAD_LU
	scratch_load_b64 v[4:5], off, off offset:184 th:TH_LOAD_LU
	v_add_f64_e32 v[136:137], v[6:7], v[0:1]
	v_fma_f64 v[0:1], v[49:50], s[42:43], v[217:218]
	v_fma_f64 v[6:7], v[72:73], s[18:19], -v[243:244]
	s_wait_loadcnt 0x1
	s_delay_alu instid0(VALU_DEP_2) | instskip(SKIP_2) | instid1(VALU_DEP_1)
	v_add_f64_e32 v[0:1], v[0:1], v[2:3]
	v_fma_f64 v[2:3], v[47:48], s[26:27], -v[219:220]
	s_wait_loadcnt 0x0
	v_add_f64_e32 v[2:3], v[2:3], v[4:5]
	v_fma_f64 v[4:5], v[45:46], s[36:37], v[221:222]
	s_delay_alu instid0(VALU_DEP_1) | instskip(SKIP_1) | instid1(VALU_DEP_1)
	v_add_f64_e32 v[0:1], v[4:5], v[0:1]
	v_fma_f64 v[4:5], v[43:44], s[20:21], -v[223:224]
	v_add_f64_e32 v[2:3], v[4:5], v[2:3]
	v_fma_f64 v[4:5], v[41:42], s[46:47], v[225:226]
	s_delay_alu instid0(VALU_DEP_1) | instskip(SKIP_1) | instid1(VALU_DEP_1)
	v_add_f64_e32 v[0:1], v[4:5], v[0:1]
	v_fma_f64 v[4:5], v[39:40], s[6:7], -v[227:228]
	;; [unrolled: 5-line block ×5, first 2 shown]
	v_add_f64_e32 v[2:3], v[4:5], v[2:3]
	v_fma_f64 v[4:5], v[37:38], s[16:17], v[241:242]
	s_delay_alu instid0(VALU_DEP_2)
	v_add_f64_e32 v[98:99], v[6:7], v[2:3]
	scratch_load_b64 v[2:3], off, off offset:176 th:TH_LOAD_LU ; 8-byte Folded Reload
	v_add_f64_e32 v[96:97], v[4:5], v[0:1]
	scratch_load_b64 v[4:5], off, off offset:168 th:TH_LOAD_LU ; 8-byte Folded Reload
	v_fma_f64 v[0:1], v[49:50], s[38:39], v[144:145]
	v_fma_f64 v[6:7], v[72:73], s[10:11], -v[182:183]
	s_wait_loadcnt 0x1
	s_delay_alu instid0(VALU_DEP_2) | instskip(SKIP_2) | instid1(VALU_DEP_1)
	v_add_f64_e32 v[0:1], v[0:1], v[2:3]
	v_fma_f64 v[2:3], v[47:48], s[30:31], -v[146:147]
	s_wait_loadcnt 0x0
	v_add_f64_e32 v[2:3], v[2:3], v[4:5]
	v_fma_f64 v[4:5], v[45:46], s[40:41], v[150:151]
	s_delay_alu instid0(VALU_DEP_1) | instskip(SKIP_1) | instid1(VALU_DEP_1)
	v_add_f64_e32 v[0:1], v[4:5], v[0:1]
	v_fma_f64 v[4:5], v[43:44], s[26:27], -v[67:68]
	v_add_f64_e32 v[2:3], v[4:5], v[2:3]
	v_fma_f64 v[4:5], v[41:42], s[36:37], v[74:75]
	s_delay_alu instid0(VALU_DEP_1) | instskip(SKIP_1) | instid1(VALU_DEP_1)
	v_add_f64_e32 v[0:1], v[4:5], v[0:1]
	v_fma_f64 v[4:5], v[39:40], s[20:21], -v[158:159]
	;; [unrolled: 5-line block ×5, first 2 shown]
	v_add_f64_e32 v[2:3], v[4:5], v[2:3]
	v_fma_f64 v[4:5], v[37:38], s[24:25], v[176:177]
	s_delay_alu instid0(VALU_DEP_2)
	v_add_f64_e32 v[94:95], v[6:7], v[2:3]
	scratch_load_b64 v[2:3], off, off offset:72 th:TH_LOAD_LU ; 8-byte Folded Reload
	v_add_f64_e32 v[92:93], v[4:5], v[0:1]
	scratch_load_b64 v[4:5], off, off offset:56 th:TH_LOAD_LU ; 8-byte Folded Reload
	v_fma_f64 v[0:1], v[49:50], s[22:23], v[100:101]
	v_fma_f64 v[6:7], v[72:73], s[6:7], -v[126:127]
	s_wait_loadcnt 0x1
	s_delay_alu instid0(VALU_DEP_2) | instskip(SKIP_2) | instid1(VALU_DEP_1)
	v_add_f64_e32 v[0:1], v[0:1], v[2:3]
	v_fma_f64 v[2:3], v[47:48], s[14:15], -v[102:103]
	s_wait_loadcnt 0x0
	v_add_f64_e32 v[2:3], v[2:3], v[4:5]
	v_fma_f64 v[4:5], v[45:46], s[38:39], v[104:105]
	s_delay_alu instid0(VALU_DEP_1) | instskip(SKIP_1) | instid1(VALU_DEP_1)
	v_add_f64_e32 v[0:1], v[4:5], v[0:1]
	v_fma_f64 v[4:5], v[43:44], s[30:31], -v[106:107]
	v_add_f64_e32 v[2:3], v[4:5], v[2:3]
	v_fma_f64 v[4:5], v[41:42], s[42:43], v[108:109]
	s_delay_alu instid0(VALU_DEP_1) | instskip(SKIP_1) | instid1(VALU_DEP_1)
	v_add_f64_e32 v[0:1], v[4:5], v[0:1]
	v_fma_f64 v[4:5], v[39:40], s[26:27], -v[110:111]
	;; [unrolled: 5-line block ×5, first 2 shown]
	v_add_f64_e32 v[2:3], v[4:5], v[2:3]
	v_fma_f64 v[4:5], v[37:38], s[46:47], v[124:125]
	s_delay_alu instid0(VALU_DEP_2) | instskip(NEXT) | instid1(VALU_DEP_2)
	v_add_f64_e32 v[102:103], v[6:7], v[2:3]
	v_add_f64_e32 v[100:101], v[4:5], v[0:1]
	s_clause 0x3
	scratch_load_b64 v[0:1], off, off offset:88 th:TH_LOAD_LU
	scratch_load_b64 v[4:5], off, off offset:24 th:TH_LOAD_LU
	;; [unrolled: 1-line block ×4, first 2 shown]
	s_wait_loadcnt 0x3
	v_fma_f64 v[0:1], v[49:50], s[44:45], v[0:1]
	s_wait_loadcnt 0x2
	s_delay_alu instid0(VALU_DEP_1) | instskip(SKIP_4) | instid1(VALU_DEP_1)
	v_add_f64_e32 v[0:1], v[0:1], v[4:5]
	scratch_load_b64 v[4:5], off, off offset:40 th:TH_LOAD_LU ; 8-byte Folded Reload
	s_wait_loadcnt 0x2
	v_fma_f64 v[2:3], v[47:48], s[18:19], -v[2:3]
	s_wait_loadcnt 0x0
	v_add_f64_e32 v[2:3], v[2:3], v[4:5]
	scratch_load_b64 v[4:5], off, off offset:112 th:TH_LOAD_LU ; 8-byte Folded Reload
	s_wait_loadcnt 0x0
	v_fma_f64 v[4:5], v[45:46], s[34:35], v[4:5]
	s_delay_alu instid0(VALU_DEP_1) | instskip(SKIP_3) | instid1(VALU_DEP_1)
	v_add_f64_e32 v[0:1], v[4:5], v[0:1]
	scratch_load_b64 v[4:5], off, off offset:128 th:TH_LOAD_LU ; 8-byte Folded Reload
	s_wait_loadcnt 0x0
	v_fma_f64 v[4:5], v[41:42], s[22:23], v[4:5]
	v_add_f64_e32 v[0:1], v[4:5], v[0:1]
	scratch_load_b64 v[4:5], off, off offset:144 th:TH_LOAD_LU ; 8-byte Folded Reload
	s_wait_loadcnt 0x0
	v_fma_f64 v[4:5], v[35:36], s[48:49], v[4:5]
	s_delay_alu instid0(VALU_DEP_1) | instskip(SKIP_3) | instid1(VALU_DEP_1)
	v_add_f64_e32 v[0:1], v[4:5], v[0:1]
	scratch_load_b64 v[4:5], off, off offset:160 th:TH_LOAD_LU ; 8-byte Folded Reload
	s_wait_loadcnt 0x0
	v_fma_f64 v[4:5], v[25:26], s[38:39], v[4:5]
	v_add_f64_e32 v[0:1], v[4:5], v[0:1]
	v_fma_f64 v[4:5], v[29:30], s[24:25], v[84:85]
	v_mov_b32_e32 v85, v255
	s_delay_alu instid0(VALU_DEP_2) | instskip(SKIP_1) | instid1(VALU_DEP_1)
	v_add_f64_e32 v[0:1], v[4:5], v[0:1]
	v_fma_f64 v[4:5], v[37:38], s[42:43], v[88:89]
	v_add_f64_e32 v[25:26], v[4:5], v[0:1]
	scratch_load_b32 v0, off, off offset:8 th:TH_LOAD_LU ; 4-byte Folded Reload
	v_fma_f64 v[6:7], v[43:44], s[28:29], -v[6:7]
	s_delay_alu instid0(VALU_DEP_1) | instskip(SKIP_4) | instid1(VALU_DEP_1)
	v_add_f64_e32 v[2:3], v[6:7], v[2:3]
	scratch_load_b64 v[6:7], off, off offset:136 th:TH_LOAD_LU ; 8-byte Folded Reload
	s_wait_loadcnt 0x1
	v_lshlrev_b32_e32 v29, 4, v0
	v_mul_u32_u24_e32 v0, 0x770, v85
	v_add3_u32 v0, 0, v0, v29
	s_wait_loadcnt 0x0
	v_fma_f64 v[6:7], v[39:40], s[14:15], -v[6:7]
	s_delay_alu instid0(VALU_DEP_1) | instskip(SKIP_3) | instid1(VALU_DEP_1)
	v_add_f64_e32 v[2:3], v[6:7], v[2:3]
	scratch_load_b64 v[6:7], off, off offset:152 th:TH_LOAD_LU ; 8-byte Folded Reload
	s_wait_loadcnt 0x0
	v_fma_f64 v[6:7], v[27:28], s[20:21], -v[6:7]
	v_add_f64_e32 v[2:3], v[6:7], v[2:3]
	v_fma_f64 v[6:7], v[31:32], s[30:31], -v[82:83]
	s_delay_alu instid0(VALU_DEP_1) | instskip(SKIP_1) | instid1(VALU_DEP_1)
	v_add_f64_e32 v[2:3], v[6:7], v[2:3]
	v_fma_f64 v[6:7], v[33:34], s[10:11], -v[86:87]
	v_add_f64_e32 v[2:3], v[6:7], v[2:3]
	v_fma_f64 v[6:7], v[72:73], s[26:27], -v[90:91]
	s_delay_alu instid0(VALU_DEP_1)
	v_add_f64_e32 v[27:28], v[6:7], v[2:3]
	ds_store_b128 v0, v[184:187]
	ds_store_b128 v0, v[63:66] offset:112
	ds_store_b128 v0, v[154:157] offset:224
	;; [unrolled: 1-line block ×16, first 2 shown]
	global_wb scope:SCOPE_SE
	s_wait_storecnt_dscnt 0x0
	s_barrier_signal -1
	s_barrier_wait -1
	global_inv scope:SCOPE_SE
	s_and_saveexec_b32 s58, s33
	s_cbranch_execz .LBB0_50
; %bb.49:
	v_mul_hi_u32 v0, 0xf0f0f10, v85
	s_add_co_i32 s33, 0, 0x7e70
	v_mul_lo_u32 v30, 0xffffffef, v71
	s_lshl_b64 s[0:1], s[0:1], 4
	s_wait_alu 0xfffe
	s_add_nc_u64 s[0:1], s[2:3], s[0:1]
	s_delay_alu instid0(VALU_DEP_2) | instskip(NEXT) | instid1(VALU_DEP_1)
	v_mul_u32_u24_e32 v0, 17, v0
	v_sub_nc_u32_e32 v255, v85, v0
	s_delay_alu instid0(VALU_DEP_1) | instskip(SKIP_1) | instid1(VALU_DEP_1)
	v_mul_lo_u32 v1, v255, v71
	v_add_nc_u32_e32 v0, 0x110, v255
	v_mul_lo_u32 v2, v0, v71
	s_delay_alu instid0(VALU_DEP_3) | instskip(SKIP_1) | instid1(VALU_DEP_2)
	v_lshrrev_b32_e32 v0, 1, v1
	v_and_b32_e32 v5, 31, v1
	v_and_b32_e32 v0, 0x1f0, v0
	s_delay_alu instid0(VALU_DEP_2) | instskip(SKIP_2) | instid1(VALU_DEP_4)
	v_lshl_add_u32 v5, v5, 4, 0
	v_lshrrev_b32_e32 v4, 1, v2
	v_and_b32_e32 v3, 31, v2
	v_add_nc_u32_e32 v6, s33, v0
	v_lshrrev_b32_e32 v0, 6, v1
	s_delay_alu instid0(VALU_DEP_4) | instskip(NEXT) | instid1(VALU_DEP_4)
	v_and_b32_e32 v4, 0x1f0, v4
	v_lshl_add_u32 v1, v3, 4, 0
	ds_load_b128 v[17:20], v5 offset:32368
	ds_load_b128 v[13:16], v6 offset:512
	v_and_b32_e32 v0, 0x1f0, v0
	v_add_nc_u32_e32 v3, s33, v4
	v_add_nc_u32_e32 v4, v2, v30
	ds_load_b128 v[21:24], v1 offset:32368
	ds_load_b128 v[25:28], v3 offset:512
	v_lshrrev_b32_e32 v2, 6, v2
	v_lshrrev_b32_e32 v1, 1, v4
	;; [unrolled: 1-line block ×3, first 2 shown]
	v_and_b32_e32 v3, 31, v4
	v_add_nc_u32_e32 v0, s33, v0
	v_and_b32_e32 v2, 0x1f0, v2
	v_and_b32_e32 v1, 0x1f0, v1
	;; [unrolled: 1-line block ×3, first 2 shown]
	v_lshl_add_u32 v3, v3, 4, 0
	ds_load_b128 v[231:234], v0 offset:1024
	v_add_nc_u32_e32 v2, s33, v2
	v_add_nc_u32_e32 v4, v4, v30
	s_wait_dscnt 0x3
	v_mul_f64_e32 v[47:48], v[19:20], v[15:16]
	v_mul_f64_e32 v[15:16], v[17:18], v[15:16]
	ds_load_b128 v[5:8], v2 offset:1024
	v_add_nc_u32_e32 v0, s33, v1
	v_add_nc_u32_e32 v1, s33, v9
	ds_load_b128 v[31:34], v3 offset:32368
	ds_load_b128 v[35:38], v0 offset:512
	;; [unrolled: 1-line block ×3, first 2 shown]
	s_wait_dscnt 0x5
	v_mul_f64_e32 v[49:50], v[23:24], v[27:28]
	v_mul_f64_e32 v[27:28], v[21:22], v[27:28]
	v_lshrrev_b32_e32 v0, 1, v4
	v_and_b32_e32 v1, 31, v4
	v_lshrrev_b32_e32 v2, 6, v4
	v_add_nc_u32_e32 v53, v4, v30
	s_delay_alu instid0(VALU_DEP_4) | instskip(NEXT) | instid1(VALU_DEP_4)
	v_and_b32_e32 v0, 0x1f0, v0
	v_lshl_add_u32 v1, v1, 4, 0
	s_delay_alu instid0(VALU_DEP_3) | instskip(NEXT) | instid1(VALU_DEP_3)
	v_lshrrev_b32_e32 v3, 1, v53
	v_add_nc_u32_e32 v0, s33, v0
	ds_load_b128 v[43:46], v1 offset:32368
	v_and_b32_e32 v1, 0x1f0, v2
	v_lshrrev_b32_e32 v2, 6, v53
	v_and_b32_e32 v3, 0x1f0, v3
	ds_load_b128 v[39:42], v0 offset:512
	s_wait_dscnt 0x3
	v_mul_f64_e32 v[51:52], v[33:34], v[37:38]
	v_mul_f64_e32 v[37:38], v[31:32], v[37:38]
	v_add_nc_u32_e32 v1, s33, v1
	v_and_b32_e32 v2, 0x1f0, v2
	v_add_nc_u32_e32 v4, s33, v3
	v_fma_f64 v[229:230], v[17:18], v[13:14], -v[47:48]
	v_fma_f64 v[63:64], v[19:20], v[13:14], v[15:16]
	ds_load_b128 v[13:16], v1 offset:1024
	v_and_b32_e32 v0, 31, v53
	v_add_nc_u32_e32 v1, s33, v2
	s_wait_dscnt 0x1
	v_mul_f64_e32 v[47:48], v[45:46], v[41:42]
	s_delay_alu instid0(VALU_DEP_3)
	v_lshl_add_u32 v0, v0, 4, 0
	v_fma_f64 v[2:3], v[21:22], v[25:26], -v[49:50]
	v_fma_f64 v[67:68], v[23:24], v[25:26], v[27:28]
	ds_load_b128 v[21:24], v0 offset:32368
	ds_load_b128 v[25:28], v4 offset:512
	;; [unrolled: 1-line block ×3, first 2 shown]
	v_add_nc_u32_e32 v0, v53, v30
	v_mul_f64_e32 v[41:42], v[43:44], v[41:42]
	s_delay_alu instid0(VALU_DEP_2) | instskip(SKIP_3) | instid1(VALU_DEP_4)
	v_lshrrev_b32_e32 v1, 1, v0
	v_and_b32_e32 v4, 31, v0
	v_add_nc_u32_e32 v17, v0, v30
	v_lshrrev_b32_e32 v0, 6, v0
	v_and_b32_e32 v1, 0x1f0, v1
	s_delay_alu instid0(VALU_DEP_4)
	v_lshl_add_u32 v4, v4, 4, 0
	v_fma_f64 v[71:72], v[31:32], v[35:36], -v[51:52]
	v_fma_f64 v[73:74], v[33:34], v[35:36], v[37:38]
	v_and_b32_e32 v0, 0x1f0, v0
	v_add_nc_u32_e32 v1, s33, v1
	ds_load_b128 v[31:34], v1 offset:512
	ds_load_b128 v[35:38], v4 offset:32368
	v_lshrrev_b32_e32 v1, 6, v17
	v_add_nc_u32_e32 v0, s33, v0
	s_wait_dscnt 0x3
	v_mul_f64_e32 v[49:50], v[23:24], v[27:28]
	v_mul_f64_e32 v[27:28], v[21:22], v[27:28]
	v_and_b32_e32 v1, 0x1f0, v1
	v_fma_f64 v[75:76], v[43:44], v[39:40], -v[47:48]
	s_delay_alu instid0(VALU_DEP_2)
	v_add_nc_u32_e32 v1, s33, v1
	ds_load_b128 v[101:104], v0 offset:1024
	ds_load_b128 v[247:250], v1 offset:1024
	v_lshrrev_b32_e32 v0, 1, v17
	v_and_b32_e32 v1, 31, v17
	v_fma_f64 v[77:78], v[45:46], v[39:40], v[41:42]
	s_wait_dscnt 0x2
	v_mul_f64_e32 v[39:40], v[37:38], v[33:34]
	v_mul_f64_e32 v[33:34], v[35:36], v[33:34]
	v_and_b32_e32 v0, 0x1f0, v0
	v_lshl_add_u32 v1, v1, 4, 0
	s_delay_alu instid0(VALU_DEP_2)
	v_add_nc_u32_e32 v0, s33, v0
	v_fma_f64 v[79:80], v[21:22], v[25:26], -v[49:50]
	v_fma_f64 v[81:82], v[23:24], v[25:26], v[27:28]
	v_fma_f64 v[83:84], v[35:36], v[31:32], -v[39:40]
	v_fma_f64 v[235:236], v[37:38], v[31:32], v[33:34]
	ds_load_b128 v[31:34], v1 offset:32368
	ds_load_b128 v[35:38], v0 offset:512
	v_add_nc_u32_e32 v0, v17, v30
	s_delay_alu instid0(VALU_DEP_1) | instskip(SKIP_3) | instid1(VALU_DEP_4)
	v_add_nc_u32_e32 v4, v0, v30
	v_lshrrev_b32_e32 v1, 1, v0
	v_lshrrev_b32_e32 v17, 6, v0
	v_and_b32_e32 v0, 31, v0
	v_lshrrev_b32_e32 v18, 6, v4
	s_delay_alu instid0(VALU_DEP_4) | instskip(NEXT) | instid1(VALU_DEP_4)
	v_and_b32_e32 v1, 0x1f0, v1
	v_and_b32_e32 v17, 0x1f0, v17
	s_delay_alu instid0(VALU_DEP_4) | instskip(NEXT) | instid1(VALU_DEP_4)
	v_lshl_add_u32 v0, v0, 4, 0
	v_and_b32_e32 v18, 0x1f0, v18
	s_delay_alu instid0(VALU_DEP_4) | instskip(NEXT) | instid1(VALU_DEP_4)
	v_add_nc_u32_e32 v1, s33, v1
	v_add_nc_u32_e32 v17, s33, v17
	s_wait_dscnt 0x0
	v_mul_f64_e32 v[39:40], v[33:34], v[37:38]
	v_add_nc_u32_e32 v18, s33, v18
	s_delay_alu instid0(VALU_DEP_2) | instskip(SKIP_1) | instid1(VALU_DEP_1)
	v_fma_f64 v[237:238], v[31:32], v[35:36], -v[39:40]
	v_mul_f64_e32 v[31:32], v[31:32], v[37:38]
	v_fma_f64 v[89:90], v[33:34], v[35:36], v[31:32]
	ds_load_b128 v[41:44], v1 offset:512
	ds_load_b128 v[45:48], v0 offset:32368
	;; [unrolled: 1-line block ×4, first 2 shown]
	v_lshrrev_b32_e32 v17, 1, v4
	v_and_b32_e32 v18, 31, v4
	v_add_nc_u32_e32 v4, v4, v30
	s_delay_alu instid0(VALU_DEP_3) | instskip(NEXT) | instid1(VALU_DEP_3)
	v_and_b32_e32 v17, 0x1f0, v17
	v_lshl_add_u32 v18, v18, 4, 0
	s_delay_alu instid0(VALU_DEP_3) | instskip(NEXT) | instid1(VALU_DEP_3)
	v_add_nc_u32_e32 v21, v4, v30
	v_add_nc_u32_e32 v17, s33, v17
	s_delay_alu instid0(VALU_DEP_2) | instskip(SKIP_2) | instid1(VALU_DEP_2)
	v_lshrrev_b32_e32 v22, 6, v21
	s_wait_dscnt 0x2
	v_mul_f64_e32 v[31:32], v[47:48], v[43:44]
	v_and_b32_e32 v22, 0x1f0, v22
	s_delay_alu instid0(VALU_DEP_1) | instskip(NEXT) | instid1(VALU_DEP_3)
	v_add_nc_u32_e32 v22, s33, v22
	v_fma_f64 v[91:92], v[45:46], v[41:42], -v[31:32]
	v_mul_f64_e32 v[31:32], v[45:46], v[43:44]
	s_delay_alu instid0(VALU_DEP_1)
	v_fma_f64 v[0:1], v[47:48], v[41:42], v[31:32]
	ds_load_b128 v[41:44], v18 offset:32368
	ds_load_b128 v[45:48], v17 offset:512
	v_lshrrev_b32_e32 v17, 1, v4
	v_lshrrev_b32_e32 v18, 6, v4
	v_and_b32_e32 v4, 31, v4
	s_delay_alu instid0(VALU_DEP_3) | instskip(NEXT) | instid1(VALU_DEP_3)
	v_and_b32_e32 v17, 0x1f0, v17
	v_and_b32_e32 v18, 0x1f0, v18
	s_delay_alu instid0(VALU_DEP_3) | instskip(NEXT) | instid1(VALU_DEP_3)
	v_lshl_add_u32 v4, v4, 4, 0
	v_add_nc_u32_e32 v17, s33, v17
	s_delay_alu instid0(VALU_DEP_3) | instskip(SKIP_2) | instid1(VALU_DEP_1)
	v_add_nc_u32_e32 v18, s33, v18
	s_wait_dscnt 0x0
	v_mul_f64_e32 v[31:32], v[43:44], v[47:48]
	v_fma_f64 v[19:20], v[41:42], v[45:46], -v[31:32]
	v_mul_f64_e32 v[31:32], v[41:42], v[47:48]
	s_delay_alu instid0(VALU_DEP_1)
	v_fma_f64 v[97:98], v[43:44], v[45:46], v[31:32]
	ds_load_b128 v[49:52], v17 offset:512
	ds_load_b128 v[53:56], v4 offset:32368
	;; [unrolled: 1-line block ×4, first 2 shown]
	v_lshrrev_b32_e32 v4, 1, v21
	v_and_b32_e32 v17, 31, v21
	s_delay_alu instid0(VALU_DEP_2) | instskip(NEXT) | instid1(VALU_DEP_2)
	v_and_b32_e32 v4, 0x1f0, v4
	v_lshl_add_u32 v17, v17, 4, 0
	s_delay_alu instid0(VALU_DEP_2) | instskip(SKIP_2) | instid1(VALU_DEP_1)
	v_add_nc_u32_e32 v4, s33, v4
	s_wait_dscnt 0x2
	v_mul_f64_e32 v[31:32], v[55:56], v[51:52]
	v_fma_f64 v[99:100], v[53:54], v[49:50], -v[31:32]
	v_mul_f64_e32 v[31:32], v[53:54], v[51:52]
	s_delay_alu instid0(VALU_DEP_1) | instskip(SKIP_3) | instid1(VALU_DEP_1)
	v_fma_f64 v[37:38], v[55:56], v[49:50], v[31:32]
	ds_load_b128 v[49:52], v17 offset:32368
	ds_load_b128 v[53:56], v4 offset:512
	v_add_nc_u32_e32 v4, v21, v30
	v_add_nc_u32_e32 v39, v4, v30
	v_lshrrev_b32_e32 v21, 1, v4
	v_lshrrev_b32_e32 v22, 6, v4
	v_and_b32_e32 v4, 31, v4
	s_delay_alu instid0(VALU_DEP_4) | instskip(NEXT) | instid1(VALU_DEP_4)
	v_lshrrev_b32_e32 v23, 6, v39
	v_and_b32_e32 v21, 0x1f0, v21
	s_delay_alu instid0(VALU_DEP_4) | instskip(NEXT) | instid1(VALU_DEP_4)
	v_and_b32_e32 v22, 0x1f0, v22
	v_lshl_add_u32 v4, v4, 4, 0
	s_delay_alu instid0(VALU_DEP_4) | instskip(NEXT) | instid1(VALU_DEP_4)
	v_and_b32_e32 v23, 0x1f0, v23
	v_add_nc_u32_e32 v21, s33, v21
	s_delay_alu instid0(VALU_DEP_4) | instskip(SKIP_3) | instid1(VALU_DEP_2)
	v_add_nc_u32_e32 v22, s33, v22
	s_wait_dscnt 0x0
	v_mul_f64_e32 v[31:32], v[51:52], v[55:56]
	v_add_nc_u32_e32 v23, s33, v23
	v_fma_f64 v[17:18], v[49:50], v[53:54], -v[31:32]
	v_mul_f64_e32 v[31:32], v[49:50], v[55:56]
	s_delay_alu instid0(VALU_DEP_1)
	v_fma_f64 v[105:106], v[51:52], v[53:54], v[31:32]
	ds_load_b128 v[57:60], v21 offset:512
	ds_load_b128 v[109:112], v4 offset:32368
	;; [unrolled: 1-line block ×4, first 2 shown]
	v_lshrrev_b32_e32 v4, 1, v39
	v_and_b32_e32 v23, 31, v39
	s_delay_alu instid0(VALU_DEP_2) | instskip(NEXT) | instid1(VALU_DEP_2)
	v_and_b32_e32 v4, 0x1f0, v4
	v_lshl_add_u32 v23, v23, 4, 0
	s_delay_alu instid0(VALU_DEP_2) | instskip(SKIP_2) | instid1(VALU_DEP_1)
	v_add_nc_u32_e32 v4, s33, v4
	s_wait_dscnt 0x2
	v_mul_f64_e32 v[31:32], v[111:112], v[59:60]
	v_fma_f64 v[21:22], v[109:110], v[57:58], -v[31:32]
	v_mul_f64_e32 v[31:32], v[109:110], v[59:60]
	s_delay_alu instid0(VALU_DEP_1) | instskip(SKIP_3) | instid1(VALU_DEP_1)
	v_fma_f64 v[65:66], v[111:112], v[57:58], v[31:32]
	ds_load_b128 v[57:60], v23 offset:32368
	ds_load_b128 v[113:116], v4 offset:512
	v_add_nc_u32_e32 v4, v39, v30
	v_lshrrev_b32_e32 v39, 6, v4
	s_wait_dscnt 0x0
	v_mul_f64_e32 v[31:32], v[59:60], v[115:116]
	s_delay_alu instid0(VALU_DEP_1) | instskip(SKIP_3) | instid1(VALU_DEP_2)
	v_fma_f64 v[93:94], v[57:58], v[113:114], -v[31:32]
	v_mul_f64_e32 v[31:32], v[57:58], v[115:116]
	v_and_b32_e32 v58, 31, v4
	v_and_b32_e32 v57, 0x1f0, v39
	v_lshl_add_u32 v39, v58, 4, 0
	s_delay_alu instid0(VALU_DEP_2) | instskip(SKIP_2) | instid1(VALU_DEP_1)
	v_add_nc_u32_e32 v40, s33, v57
	v_fma_f64 v[23:24], v[59:60], v[113:114], v[31:32]
	v_lshrrev_b32_e32 v31, 1, v4
	v_and_b32_e32 v32, 0x1f0, v31
	v_add_nc_u32_e32 v31, v4, v30
	s_delay_alu instid0(VALU_DEP_2) | instskip(NEXT) | instid1(VALU_DEP_2)
	v_add_nc_u32_e32 v32, s33, v32
	v_lshrrev_b32_e32 v4, 6, v31
	s_delay_alu instid0(VALU_DEP_1) | instskip(NEXT) | instid1(VALU_DEP_1)
	v_and_b32_e32 v4, 0x1f0, v4
	v_add_nc_u32_e32 v4, s33, v4
	ds_load_b128 v[115:118], v32 offset:512
	ds_load_b128 v[119:122], v39 offset:32368
	;; [unrolled: 1-line block ×4, first 2 shown]
	v_add_nc_u32_e32 v4, v31, v30
	s_delay_alu instid0(VALU_DEP_1) | instskip(SKIP_3) | instid1(VALU_DEP_4)
	v_add_nc_u32_e32 v30, v4, v30
	v_lshrrev_b32_e32 v32, 1, v4
	v_lshrrev_b32_e32 v39, 6, v4
	v_and_b32_e32 v4, 31, v4
	v_lshrrev_b32_e32 v40, 6, v30
	s_delay_alu instid0(VALU_DEP_4) | instskip(NEXT) | instid1(VALU_DEP_4)
	v_and_b32_e32 v32, 0x1f0, v32
	v_and_b32_e32 v39, 0x1f0, v39
	s_delay_alu instid0(VALU_DEP_4) | instskip(NEXT) | instid1(VALU_DEP_4)
	v_lshl_add_u32 v4, v4, 4, 0
	v_and_b32_e32 v40, 0x1f0, v40
	s_delay_alu instid0(VALU_DEP_4)
	v_add_nc_u32_e32 v32, s33, v32
	s_wait_dscnt 0x2
	v_mul_f64_e32 v[69:70], v[121:122], v[117:118]
	v_mul_f64_e32 v[117:118], v[119:120], v[117:118]
	v_add_nc_u32_e32 v39, s33, v39
	v_add_nc_u32_e32 v40, s33, v40
	s_delay_alu instid0(VALU_DEP_4) | instskip(NEXT) | instid1(VALU_DEP_4)
	v_fma_f64 v[69:70], v[119:120], v[115:116], -v[69:70]
	v_fma_f64 v[205:206], v[121:122], v[115:116], v[117:118]
	ds_load_b128 v[115:118], v32 offset:512
	ds_load_b128 v[119:122], v4 offset:32368
	;; [unrolled: 1-line block ×4, first 2 shown]
	v_lshrrev_b32_e32 v4, 1, v30
	v_and_b32_e32 v30, 31, v30
	v_lshlrev_b32_e32 v39, 8, v255
	s_delay_alu instid0(VALU_DEP_3) | instskip(NEXT) | instid1(VALU_DEP_3)
	v_and_b32_e32 v4, 0x1f0, v4
	v_lshl_add_u32 v30, v30, 4, 0
	s_delay_alu instid0(VALU_DEP_2) | instskip(SKIP_3) | instid1(VALU_DEP_2)
	v_add_nc_u32_e32 v4, s33, v4
	s_wait_dscnt 0x2
	v_mul_f64_e32 v[123:124], v[121:122], v[117:118]
	v_mul_f64_e32 v[117:118], v[119:120], v[117:118]
	v_fma_f64 v[219:220], v[119:120], v[115:116], -v[123:124]
	s_delay_alu instid0(VALU_DEP_2) | instskip(SKIP_4) | instid1(VALU_DEP_2)
	v_fma_f64 v[221:222], v[121:122], v[115:116], v[117:118]
	ds_load_b128 v[115:118], v30 offset:32368
	ds_load_b128 v[119:122], v4 offset:512
	v_lshrrev_b32_e32 v4, 1, v31
	v_and_b32_e32 v30, 31, v31
	v_and_b32_e32 v4, 0x1f0, v4
	s_delay_alu instid0(VALU_DEP_2) | instskip(NEXT) | instid1(VALU_DEP_2)
	v_lshl_add_u32 v30, v30, 4, 0
	v_add_nc_u32_e32 v4, s33, v4
	s_wait_dscnt 0x0
	v_mul_f64_e32 v[123:124], v[117:118], v[121:122]
	s_delay_alu instid0(VALU_DEP_1) | instskip(SKIP_1) | instid1(VALU_DEP_1)
	v_fma_f64 v[223:224], v[115:116], v[119:120], -v[123:124]
	v_mul_f64_e32 v[115:116], v[115:116], v[121:122]
	v_fma_f64 v[225:226], v[117:118], v[119:120], v[115:116]
	ds_load_b128 v[115:118], v30 offset:32368
	ds_load_b128 v[123:126], v4 offset:512
	v_mul_u32_u24_e32 v4, 0x70, v85
	s_delay_alu instid0(VALU_DEP_1) | instskip(SKIP_2) | instid1(VALU_DEP_1)
	v_add3_u32 v4, 0, v4, v29
	s_wait_dscnt 0x0
	v_mul_f64_e32 v[30:31], v[117:118], v[125:126]
	v_fma_f64 v[30:31], v[115:116], v[123:124], -v[30:31]
	scratch_store_b64 off, v[30:31], off offset:120 ; 8-byte Folded Spill
	v_mul_f64_e32 v[30:31], v[115:116], v[125:126]
	s_delay_alu instid0(VALU_DEP_1)
	v_fma_f64 v[30:31], v[117:118], v[123:124], v[30:31]
	global_load_b128 v[115:118], v39, s[4:5]
	scratch_store_b64 off, v[30:31], off offset:128 ; 8-byte Folded Spill
	ds_load_b128 v[129:132], v4 offset:1904
	ds_load_b128 v[29:32], v4
	global_load_b128 v[137:140], v39, s[4:5] offset:16
	s_wait_loadcnt_dscnt 0x101
	v_mul_f64_e32 v[119:120], v[129:130], v[117:118]
	v_mul_f64_e32 v[117:118], v[131:132], v[117:118]
	s_delay_alu instid0(VALU_DEP_2) | instskip(NEXT) | instid1(VALU_DEP_2)
	v_fma_f64 v[121:122], v[131:132], v[115:116], v[119:120]
	v_fma_f64 v[129:130], v[129:130], v[115:116], -v[117:118]
	s_clause 0x1
	global_load_b128 v[117:120], v39, s[4:5] offset:240
	global_load_b128 v[131:134], v39, s[4:5] offset:224
	ds_load_b128 v[141:144], v4 offset:30464
	s_wait_loadcnt_dscnt 0x100
	v_mul_f64_e32 v[115:116], v[141:142], v[119:120]
	v_mul_f64_e32 v[119:120], v[143:144], v[119:120]
	s_delay_alu instid0(VALU_DEP_2) | instskip(NEXT) | instid1(VALU_DEP_2)
	v_fma_f64 v[95:96], v[143:144], v[117:118], v[115:116]
	v_fma_f64 v[109:110], v[141:142], v[117:118], -v[119:120]
	ds_load_b128 v[141:144], v4 offset:3808
	ds_load_b128 v[145:148], v4 offset:5712
	s_wait_dscnt 0x1
	v_mul_f64_e32 v[119:120], v[141:142], v[139:140]
	s_delay_alu instid0(VALU_DEP_1) | instskip(SKIP_1) | instid1(VALU_DEP_1)
	v_fma_f64 v[245:246], v[143:144], v[137:138], v[119:120]
	v_mul_f64_e32 v[119:120], v[143:144], v[139:140]
	v_fma_f64 v[251:252], v[141:142], v[137:138], -v[119:120]
	ds_load_b128 v[139:142], v4 offset:28560
	ds_load_b128 v[149:152], v4 offset:26656
	s_wait_loadcnt_dscnt 0x1
	v_mul_f64_e32 v[119:120], v[139:140], v[133:134]
	v_mul_f64_e32 v[123:124], v[141:142], v[133:134]
	s_delay_alu instid0(VALU_DEP_2) | instskip(NEXT) | instid1(VALU_DEP_2)
	v_fma_f64 v[111:112], v[141:142], v[131:132], v[119:120]
	v_fma_f64 v[115:116], v[139:140], v[131:132], -v[123:124]
	s_clause 0x3
	global_load_b128 v[131:134], v39, s[4:5] offset:32
	global_load_b128 v[153:156], v39, s[4:5] offset:48
	;; [unrolled: 1-line block ×4, first 2 shown]
	s_wait_loadcnt 0x3
	v_mul_f64_e32 v[139:140], v[145:146], v[133:134]
	v_mul_f64_e32 v[133:134], v[147:148], v[133:134]
	s_delay_alu instid0(VALU_DEP_2) | instskip(NEXT) | instid1(VALU_DEP_2)
	v_fma_f64 v[253:254], v[147:148], v[131:132], v[139:140]
	v_fma_f64 v[145:146], v[145:146], v[131:132], -v[133:134]
	s_wait_loadcnt_dscnt 0x100
	v_mul_f64_e32 v[131:132], v[149:150], v[159:160]
	v_mul_f64_e32 v[133:134], v[151:152], v[159:160]
	s_delay_alu instid0(VALU_DEP_2) | instskip(NEXT) | instid1(VALU_DEP_2)
	v_fma_f64 v[117:118], v[151:152], v[157:158], v[131:132]
	v_fma_f64 v[131:132], v[149:150], v[157:158], -v[133:134]
	ds_load_b128 v[149:152], v4 offset:7616
	ds_load_b128 v[165:168], v4 offset:9520
	s_wait_dscnt 0x1
	v_mul_f64_e32 v[139:140], v[149:150], v[155:156]
	s_delay_alu instid0(VALU_DEP_1) | instskip(SKIP_1) | instid1(VALU_DEP_1)
	v_fma_f64 v[147:148], v[151:152], v[153:154], v[139:140]
	v_mul_f64_e32 v[139:140], v[151:152], v[155:156]
	v_fma_f64 v[149:150], v[149:150], v[153:154], -v[139:140]
	ds_load_b128 v[151:154], v4 offset:24752
	ds_load_b128 v[169:172], v4 offset:22848
	s_wait_loadcnt_dscnt 0x1
	v_mul_f64_e32 v[139:140], v[151:152], v[163:164]
	v_mul_f64_e32 v[143:144], v[153:154], v[163:164]
	s_delay_alu instid0(VALU_DEP_2)
	v_fma_f64 v[133:134], v[153:154], v[161:162], v[139:140]
	global_load_b128 v[153:156], v39, s[4:5] offset:112
	ds_load_b128 v[157:160], v4 offset:15232
	ds_load_b128 v[193:196], v4 offset:17136
	v_fma_f64 v[143:144], v[151:152], v[161:162], -v[143:144]
	global_load_b128 v[185:188], v39, s[4:5] offset:96
	s_wait_loadcnt_dscnt 0x101
	v_mul_f64_e32 v[151:152], v[157:158], v[155:156]
	v_mul_f64_e32 v[155:156], v[159:160], v[155:156]
	s_delay_alu instid0(VALU_DEP_2) | instskip(NEXT) | instid1(VALU_DEP_2)
	v_fma_f64 v[151:152], v[159:160], v[153:154], v[151:152]
	v_fma_f64 v[153:154], v[157:158], v[153:154], -v[155:156]
	s_clause 0x1
	global_load_b128 v[155:158], v39, s[4:5] offset:64
	global_load_b128 v[175:178], v39, s[4:5] offset:80
	s_wait_loadcnt 0x1
	v_mul_f64_e32 v[159:160], v[165:166], v[157:158]
	v_mul_f64_e32 v[157:158], v[167:168], v[157:158]
	s_delay_alu instid0(VALU_DEP_2) | instskip(NEXT) | instid1(VALU_DEP_2)
	v_fma_f64 v[159:160], v[167:168], v[155:156], v[159:160]
	v_fma_f64 v[163:164], v[165:166], v[155:156], -v[157:158]
	s_clause 0x1
	global_load_b128 v[165:168], v39, s[4:5] offset:176
	global_load_b128 v[189:192], v39, s[4:5] offset:160
	s_wait_loadcnt 0x1
	v_mul_f64_e32 v[155:156], v[169:170], v[167:168]
	v_mul_f64_e32 v[157:158], v[171:172], v[167:168]
	s_delay_alu instid0(VALU_DEP_2) | instskip(NEXT) | instid1(VALU_DEP_2)
	v_fma_f64 v[155:156], v[171:172], v[165:166], v[155:156]
	v_fma_f64 v[157:158], v[169:170], v[165:166], -v[157:158]
	ds_load_b128 v[165:168], v4 offset:11424
	ds_load_b128 v[197:200], v4 offset:13328
	;; [unrolled: 1-line block ×4, first 2 shown]
	s_wait_dscnt 0x3
	v_mul_f64_e32 v[161:162], v[165:166], v[177:178]
	s_delay_alu instid0(VALU_DEP_1) | instskip(SKIP_1) | instid1(VALU_DEP_1)
	v_fma_f64 v[173:174], v[167:168], v[175:176], v[161:162]
	v_mul_f64_e32 v[161:162], v[167:168], v[177:178]
	v_fma_f64 v[177:178], v[165:166], v[175:176], -v[161:162]
	s_wait_loadcnt_dscnt 0x1
	v_mul_f64_e32 v[161:162], v[169:170], v[191:192]
	s_delay_alu instid0(VALU_DEP_1) | instskip(SKIP_1) | instid1(VALU_DEP_1)
	v_fma_f64 v[167:168], v[171:172], v[189:190], v[161:162]
	v_mul_f64_e32 v[161:162], v[171:172], v[191:192]
	v_fma_f64 v[171:172], v[169:170], v[189:190], -v[161:162]
	v_mul_f64_e32 v[161:162], v[197:198], v[187:188]
	s_delay_alu instid0(VALU_DEP_1) | instskip(SKIP_1) | instid1(VALU_DEP_1)
	v_fma_f64 v[183:184], v[199:200], v[185:186], v[161:162]
	v_mul_f64_e32 v[161:162], v[199:200], v[187:188]
	v_fma_f64 v[189:190], v[197:198], v[185:186], -v[161:162]
	s_clause 0x1
	global_load_b128 v[197:200], v39, s[4:5] offset:144
	global_load_b128 v[215:218], v39, s[4:5] offset:128
	s_wait_loadcnt_dscnt 0x100
	v_mul_f64_e32 v[161:162], v[201:202], v[199:200]
	s_delay_alu instid0(VALU_DEP_1) | instskip(SKIP_1) | instid1(VALU_DEP_1)
	v_fma_f64 v[185:186], v[203:204], v[197:198], v[161:162]
	v_mul_f64_e32 v[161:162], v[203:204], v[199:200]
	v_fma_f64 v[191:192], v[201:202], v[197:198], -v[161:162]
	s_wait_loadcnt 0x0
	v_mul_f64_e32 v[161:162], v[193:194], v[217:218]
	s_delay_alu instid0(VALU_DEP_1) | instskip(SKIP_1) | instid1(VALU_DEP_1)
	v_fma_f64 v[197:198], v[195:196], v[215:216], v[161:162]
	v_mul_f64_e32 v[161:162], v[195:196], v[217:218]
	v_fma_f64 v[201:202], v[193:194], v[215:216], -v[161:162]
	v_mul_f64_e32 v[161:162], v[67:68], v[7:8]
	v_mul_f64_e32 v[7:8], v[2:3], v[7:8]
	s_delay_alu instid0(VALU_DEP_2) | instskip(NEXT) | instid1(VALU_DEP_2)
	v_fma_f64 v[215:216], v[5:6], v[2:3], -v[161:162]
	v_fma_f64 v[243:244], v[5:6], v[67:68], v[7:8]
	v_mul_f64_e32 v[7:8], v[73:74], v[11:12]
	v_add_f64_e32 v[67:68], v[251:252], v[115:116]
	v_mul_f64_e32 v[2:3], v[81:82], v[241:242]
	s_delay_alu instid0(VALU_DEP_3)
	v_fma_f64 v[217:218], v[9:10], v[71:72], -v[7:8]
	v_mul_f64_e32 v[7:8], v[71:72], v[11:12]
	v_mul_f64_e32 v[11:12], v[0:1], v[35:36]
	v_add_f64_e64 v[71:72], v[145:146], -v[131:132]
	v_fma_f64 v[85:86], v[239:240], v[79:80], -v[2:3]
	v_mul_f64_e32 v[2:3], v[79:80], v[241:242]
	v_add_f64_e32 v[79:80], v[149:150], v[143:144]
	v_fma_f64 v[227:228], v[9:10], v[73:74], v[7:8]
	v_mul_f64_e32 v[7:8], v[77:78], v[15:16]
	v_mul_f64_e32 v[9:10], v[91:92], v[35:36]
	v_add_f64_e64 v[35:36], v[245:246], -v[111:112]
	v_fma_f64 v[125:126], v[33:34], v[91:92], -v[11:12]
	v_add_f64_e32 v[73:74], v[145:146], v[131:132]
	v_fma_f64 v[87:88], v[239:240], v[81:82], v[2:3]
	v_mul_f64_e32 v[2:3], v[235:236], v[103:104]
	v_add_f64_e32 v[81:82], v[163:164], v[157:158]
	v_add_f64_e64 v[91:92], v[189:190], -v[191:192]
	v_fma_f64 v[61:62], v[13:14], v[75:76], -v[7:8]
	v_mul_f64_e32 v[7:8], v[75:76], v[15:16]
	v_mul_f64_e32 v[15:16], v[97:98], v[27:28]
	v_fma_f64 v[127:128], v[33:34], v[0:1], v[9:10]
	v_add_f64_e32 v[33:34], v[253:254], v[117:118]
	v_add_f64_e64 v[75:76], v[149:150], -v[143:144]
	v_fma_f64 v[113:114], v[101:102], v[83:84], -v[2:3]
	v_add_f64_e64 v[10:11], v[173:174], -v[167:168]
	v_add_f64_e32 v[2:3], v[151:152], v[197:198]
	v_fma_f64 v[39:40], v[13:14], v[77:78], v[7:8]
	v_fma_f64 v[137:138], v[25:26], v[19:20], -v[15:16]
	v_mul_f64_e32 v[15:16], v[99:100], v[47:48]
	v_mul_f64_e32 v[7:8], v[83:84], v[103:104]
	;; [unrolled: 1-line block ×3, first 2 shown]
	v_add_f64_e64 v[27:28], v[253:254], -v[117:118]
	v_add_f64_e64 v[77:78], v[163:164], -v[157:158]
	;; [unrolled: 1-line block ×3, first 2 shown]
	v_mul_f64_e32 v[103:104], s[18:19], v[33:34]
	v_fma_f64 v[139:140], v[45:46], v[37:38], v[15:16]
	v_mul_f64_e32 v[15:16], v[37:38], v[47:48]
	v_add_f64_e32 v[37:38], v[121:122], v[95:96]
	v_fma_f64 v[107:108], v[101:102], v[235:236], v[7:8]
	v_mul_f64_e32 v[7:8], v[89:90], v[249:250]
	v_fma_f64 v[135:136], v[25:26], v[97:98], v[13:14]
	v_add_f64_e32 v[25:26], v[147:148], v[133:134]
	v_add_f64_e32 v[12:13], v[173:174], v[167:168]
	;; [unrolled: 1-line block ×3, first 2 shown]
	v_mul_f64_e32 v[101:102], s[56:57], v[10:11]
	v_fma_f64 v[141:142], v[45:46], v[99:100], -v[15:16]
	v_mul_f64_e32 v[15:16], v[17:18], v[43:44]
	v_mul_f64_e32 v[4:5], s[6:7], v[37:38]
	v_fma_f64 v[123:124], v[247:248], v[237:238], -v[7:8]
	v_mul_f64_e32 v[7:8], v[237:238], v[249:250]
	v_add_f64_e32 v[99:100], v[153:154], v[201:202]
	v_fma_f64 v[0:1], v[41:42], v[105:106], v[15:16]
	v_mul_f64_e32 v[15:16], v[105:106], v[43:44]
	v_add_f64_e32 v[43:44], v[245:246], v[111:112]
	v_fma_f64 v[119:120], v[247:248], v[89:90], v[7:8]
	v_mul_f64_e32 v[8:9], s[28:29], v[33:34]
	v_mul_f64_e32 v[6:7], s[14:15], v[25:26]
	v_add_f64_e32 v[89:90], v[177:178], v[171:172]
	v_add_f64_e64 v[105:106], v[153:154], -v[201:202]
	scratch_store_b64 off, v[0:1], off offset:732 ; 8-byte Folded Spill
	v_fma_f64 v[0:1], v[41:42], v[17:18], -v[15:16]
	v_mul_f64_e32 v[15:16], v[21:22], v[55:56]
	v_mul_f64_e32 v[19:20], s[18:19], v[43:44]
	v_add_f64_e64 v[17:18], v[159:160], -v[155:156]
	scratch_store_b64 off, v[0:1], off offset:724 ; 8-byte Folded Spill
	v_fma_f64 v[0:1], v[53:54], v[65:66], v[15:16]
	v_mul_f64_e32 v[15:16], v[65:66], v[55:56]
	v_add_f64_e64 v[55:56], v[129:130], -v[109:110]
	v_add_f64_e32 v[65:66], v[129:130], v[109:110]
	scratch_store_b64 off, v[0:1], off offset:708 ; 8-byte Folded Spill
	v_fma_f64 v[0:1], v[53:54], v[21:22], -v[15:16]
	v_mul_f64_e32 v[15:16], v[93:94], v[51:52]
	scratch_store_b64 off, v[0:1], off offset:700 ; 8-byte Folded Spill
	v_fma_f64 v[0:1], v[49:50], v[23:24], v[15:16]
	v_mul_f64_e32 v[15:16], v[23:24], v[51:52]
	v_add_f64_e64 v[51:52], v[121:122], -v[95:96]
	v_add_f64_e64 v[23:24], v[147:148], -v[133:134]
	scratch_store_b64 off, v[0:1], off offset:484 ; 8-byte Folded Spill
	v_fma_f64 v[0:1], v[49:50], v[93:94], -v[15:16]
	v_mul_f64_e32 v[15:16], v[69:70], v[181:182]
	v_mul_f64_e32 v[49:50], s[14:15], v[12:13]
	scratch_store_b64 off, v[0:1], off offset:476 ; 8-byte Folded Spill
	v_fma_f64 v[0:1], v[179:180], v[205:206], v[15:16]
	v_mul_f64_e32 v[15:16], v[205:206], v[181:182]
	scratch_store_b64 off, v[0:1], off offset:276 ; 8-byte Folded Spill
	v_fma_f64 v[0:1], v[179:180], v[69:70], -v[15:16]
	v_mul_f64_e32 v[15:16], v[229:230], v[233:234]
	scratch_store_b64 off, v[0:1], off offset:268 ; 8-byte Folded Spill
	v_fma_f64 v[0:1], v[231:232], v[63:64], v[15:16]
	v_mul_f64_e32 v[15:16], v[63:64], v[233:234]
	v_add_f64_e64 v[63:64], v[251:252], -v[115:116]
	scratch_store_b64 off, v[0:1], off offset:308 ; 8-byte Folded Spill
	v_fma_f64 v[0:1], v[231:232], v[229:230], -v[15:16]
	v_mul_f64_e32 v[15:16], v[219:220], v[209:210]
	scratch_store_b64 off, v[0:1], off offset:300 ; 8-byte Folded Spill
	v_fma_f64 v[0:1], v[207:208], v[221:222], v[15:16]
	v_mul_f64_e32 v[15:16], v[221:222], v[209:210]
	scratch_store_b64 off, v[0:1], off offset:144 ; 8-byte Folded Spill
	v_fma_f64 v[0:1], v[207:208], v[219:220], -v[15:16]
	v_mul_f64_e32 v[15:16], v[223:224], v[213:214]
	scratch_store_b64 off, v[0:1], off offset:136 ; 8-byte Folded Spill
	v_fma_f64 v[0:1], v[211:212], v[225:226], v[15:16]
	v_mul_f64_e32 v[15:16], v[225:226], v[213:214]
	scratch_store_b64 off, v[0:1], off offset:112 ; 8-byte Folded Spill
	v_fma_f64 v[0:1], v[211:212], v[223:224], -v[15:16]
	v_fma_f64 v[15:16], v[55:56], s[46:47], v[4:5]
	s_clause 0x5
	scratch_store_b64 off, v[0:1], off offset:104
	scratch_store_b64 off, v[95:96], off offset:380
	;; [unrolled: 1-line block ×6, first 2 shown]
	v_add_f64_e32 v[15:16], v[31:32], v[15:16]
	s_clause 0x3
	scratch_store_b64 off, v[111:112], off offset:444
	scratch_store_b64 off, v[245:246], off offset:660
	scratch_store_b64 off, v[115:116], off offset:460
	scratch_store_b64 off, v[251:252], off offset:676
	v_mul_f64_e32 v[0:1], s[8:9], v[51:52]
	scratch_store_b64 off, v[19:20], off offset:160 ; 8-byte Folded Spill
	v_fma_f64 v[20:21], v[63:64], s[16:17], v[19:20]
	v_add_f64_e64 v[4:5], v[151:152], -v[197:198]
	v_mul_f64_e32 v[129:130], s[26:27], v[43:44]
	v_mul_f64_e32 v[121:122], s[48:49], v[51:52]
	;; [unrolled: 1-line block ×6, first 2 shown]
	scratch_store_b64 off, v[0:1], off offset:168 ; 8-byte Folded Spill
	v_add_f64_e32 v[15:16], v[20:21], v[15:16]
	v_fma_f64 v[20:21], v[65:66], s[6:7], v[0:1]
	v_mul_f64_e32 v[0:1], s[44:45], v[35:36]
	s_delay_alu instid0(VALU_DEP_2) | instskip(NEXT) | instid1(VALU_DEP_2)
	v_add_f64_e32 v[20:21], v[29:30], v[20:21]
	v_fma_f64 v[53:54], v[67:68], s[18:19], v[0:1]
	scratch_store_b64 off, v[0:1], off offset:176 ; 8-byte Folded Spill
	v_mul_f64_e32 v[0:1], s[34:35], v[27:28]
	s_clause 0x4
	scratch_store_b64 off, v[117:118], off offset:548
	scratch_store_b64 off, v[253:254], off offset:684
	;; [unrolled: 1-line block ×5, first 2 shown]
	v_mul_f64_e32 v[131:132], s[14:15], v[37:38]
	v_mul_f64_e32 v[117:118], s[52:53], v[35:36]
	v_add_f64_e32 v[19:20], v[53:54], v[20:21]
	v_fma_f64 v[53:54], v[71:72], s[50:51], v[8:9]
	scratch_store_b64 off, v[0:1], off offset:192 ; 8-byte Folded Spill
	v_add_f64_e32 v[21:22], v[159:160], v[155:156]
	s_clause 0x1
	scratch_store_b64 off, v[133:134], off offset:644
	scratch_store_b64 off, v[147:148], off offset:716
	v_add_f64_e32 v[8:9], v[183:184], v[185:186]
	v_mul_f64_e32 v[133:134], s[42:43], v[35:36]
	v_add_f64_e32 v[15:16], v[53:54], v[15:16]
	v_fma_f64 v[53:54], v[73:74], s[28:29], v[0:1]
	v_mul_f64_e32 v[0:1], s[22:23], v[23:24]
	scratch_store_b64 off, v[6:7], off offset:200 ; 8-byte Folded Spill
	v_fma_f64 v[199:200], v[67:68], s[26:27], v[133:134]
	v_add_f64_e32 v[19:20], v[53:54], v[19:20]
	scratch_store_b64 off, v[0:1], off offset:208 ; 8-byte Folded Spill
	v_fma_f64 v[53:54], v[75:76], s[56:57], v[6:7]
	v_add_f64_e64 v[6:7], v[183:184], -v[185:186]
	s_delay_alu instid0(VALU_DEP_2) | instskip(SKIP_2) | instid1(VALU_DEP_4)
	v_add_f64_e32 v[15:16], v[53:54], v[15:16]
	v_fma_f64 v[53:54], v[79:80], s[14:15], v[0:1]
	v_mul_f64_e32 v[0:1], s[20:21], v[21:22]
	v_mul_f64_e32 v[93:94], s[8:9], v[6:7]
	s_delay_alu instid0(VALU_DEP_3) | instskip(SKIP_3) | instid1(VALU_DEP_2)
	v_add_f64_e32 v[19:20], v[53:54], v[19:20]
	scratch_store_b64 off, v[0:1], off offset:216 ; 8-byte Folded Spill
	v_fma_f64 v[53:54], v[77:78], s[36:37], v[0:1]
	v_mul_f64_e32 v[0:1], s[48:49], v[17:18]
	v_add_f64_e32 v[15:16], v[53:54], v[15:16]
	scratch_store_b64 off, v[0:1], off offset:224 ; 8-byte Folded Spill
	v_fma_f64 v[53:54], v[81:82], s[20:21], v[0:1]
	v_mul_f64_e32 v[0:1], s[30:31], v[12:13]
	s_delay_alu instid0(VALU_DEP_2) | instskip(SKIP_3) | instid1(VALU_DEP_2)
	v_add_f64_e32 v[19:20], v[53:54], v[19:20]
	scratch_store_b64 off, v[0:1], off offset:236 ; 8-byte Folded Spill
	v_fma_f64 v[53:54], v[83:84], s[54:55], v[0:1]
	v_mul_f64_e32 v[0:1], s[38:39], v[10:11]
	v_add_f64_e32 v[14:15], v[53:54], v[15:16]
	scratch_store_b64 off, v[0:1], off offset:244 ; 8-byte Folded Spill
	v_fma_f64 v[53:54], v[89:90], s[30:31], v[0:1]
	v_mul_f64_e32 v[0:1], s[10:11], v[8:9]
	s_delay_alu instid0(VALU_DEP_2) | instskip(SKIP_3) | instid1(VALU_DEP_2)
	;; [unrolled: 9-line block ×3, first 2 shown]
	v_add_f64_e32 v[19:20], v[53:54], v[19:20]
	scratch_store_b64 off, v[0:1], off offset:284 ; 8-byte Folded Spill
	v_fma_f64 v[53:54], v[99:100], s[26:27], v[0:1]
	v_mul_f64_e32 v[0:1], s[26:27], v[2:3]
	v_add_f64_e32 v[19:20], v[53:54], v[19:20]
	s_delay_alu instid0(VALU_DEP_2) | instskip(NEXT) | instid1(VALU_DEP_1)
	v_fma_f64 v[53:54], v[105:106], s[40:41], v[0:1]
	v_add_f64_e32 v[14:15], v[53:54], v[14:15]
	s_delay_alu instid0(VALU_DEP_3) | instskip(NEXT) | instid1(VALU_DEP_2)
	v_mul_f64_e32 v[53:54], v[19:20], v[243:244]
	v_mul_f64_e32 v[69:70], v[14:15], v[243:244]
	s_delay_alu instid0(VALU_DEP_2) | instskip(NEXT) | instid1(VALU_DEP_2)
	v_fma_f64 v[47:48], v[14:15], v[215:216], v[53:54]
	v_fma_f64 v[45:46], v[19:20], v[215:216], -v[69:70]
	scratch_store_b64 off, v[0:1], off offset:292 ; 8-byte Folded Spill
	v_mul_f64_e32 v[0:1], s[18:19], v[37:38]
	v_mul_f64_e32 v[69:70], s[38:39], v[4:5]
	s_clause 0x1
	scratch_store_b128 off, v[45:48], off offset:8
	scratch_store_b64 off, v[0:1], off offset:492
	v_fma_f64 v[14:15], v[55:56], s[16:17], v[0:1]
	v_mul_f64_e32 v[0:1], s[14:15], v[43:44]
	s_delay_alu instid0(VALU_DEP_2) | instskip(SKIP_3) | instid1(VALU_DEP_2)
	v_add_f64_e32 v[14:15], v[31:32], v[14:15]
	scratch_store_b64 off, v[0:1], off offset:500 ; 8-byte Folded Spill
	v_fma_f64 v[19:20], v[63:64], s[56:57], v[0:1]
	v_mul_f64_e32 v[0:1], s[44:45], v[51:52]
	v_add_f64_e32 v[14:15], v[19:20], v[14:15]
	scratch_store_b64 off, v[0:1], off offset:508 ; 8-byte Folded Spill
	v_fma_f64 v[19:20], v[65:66], s[18:19], v[0:1]
	v_mul_f64_e32 v[0:1], s[22:23], v[35:36]
	s_delay_alu instid0(VALU_DEP_2) | instskip(SKIP_3) | instid1(VALU_DEP_2)
	v_add_f64_e32 v[19:20], v[29:30], v[19:20]
	scratch_store_b64 off, v[0:1], off offset:516 ; 8-byte Folded Spill
	v_fma_f64 v[53:54], v[67:68], s[14:15], v[0:1]
	v_mul_f64_e32 v[0:1], s[30:31], v[33:34]
	v_add_f64_e32 v[19:20], v[53:54], v[19:20]
	scratch_store_b64 off, v[0:1], off offset:524 ; 8-byte Folded Spill
	;; [unrolled: 9-line block ×6, first 2 shown]
	v_fma_f64 v[53:54], v[91:92], s[34:35], v[0:1]
	v_mul_f64_e32 v[0:1], s[50:51], v[6:7]
	s_delay_alu instid0(VALU_DEP_2) | instskip(SKIP_4) | instid1(VALU_DEP_3)
	v_add_f64_e32 v[207:208], v[53:54], v[14:15]
	scratch_store_b64 off, v[0:1], off offset:612 ; 8-byte Folded Spill
	v_fma_f64 v[14:15], v[97:98], s[28:29], v[0:1]
	v_mul_f64_e32 v[0:1], s[46:47], v[4:5]
	v_mul_f64_e32 v[53:54], s[26:27], v[21:22]
	v_add_f64_e32 v[14:15], v[14:15], v[19:20]
	scratch_store_b64 off, v[0:1], off offset:620 ; 8-byte Folded Spill
	v_fma_f64 v[209:210], v[99:100], s[6:7], v[0:1]
	v_mul_f64_e32 v[0:1], s[6:7], v[2:3]
	v_mul_f64_e32 v[19:20], s[20:21], v[43:44]
	s_delay_alu instid0(VALU_DEP_3) | instskip(NEXT) | instid1(VALU_DEP_3)
	v_add_f64_e32 v[209:210], v[209:210], v[14:15]
	v_fma_f64 v[211:212], v[105:106], s[8:9], v[0:1]
	scratch_store_b64 off, v[0:1], off offset:628 ; 8-byte Folded Spill
	v_mul_f64_e32 v[0:1], s[28:29], v[37:38]
	v_mul_f64_e32 v[14:15], s[22:23], v[6:7]
	v_add_f64_e32 v[207:208], v[211:212], v[207:208]
	v_mul_f64_e32 v[211:212], v[209:210], v[227:228]
	s_clause 0x1
	scratch_store_b64 off, v[0:1], off offset:324
	scratch_store_b64 off, v[14:15], off offset:452
	v_mul_f64_e32 v[213:214], v[207:208], v[227:228]
	v_fma_f64 v[47:48], v[207:208], v[217:218], v[211:212]
	v_fma_f64 v[207:208], v[55:56], s[50:51], v[0:1]
	v_mul_f64_e32 v[0:1], s[30:31], v[43:44]
	s_delay_alu instid0(VALU_DEP_4) | instskip(NEXT) | instid1(VALU_DEP_3)
	v_fma_f64 v[45:46], v[209:210], v[217:218], -v[213:214]
	v_add_f64_e32 v[211:212], v[31:32], v[207:208]
	scratch_store_b64 off, v[0:1], off offset:316 ; 8-byte Folded Spill
	v_fma_f64 v[213:214], v[63:64], s[54:55], v[0:1]
	v_mul_f64_e32 v[0:1], s[34:35], v[51:52]
	s_delay_alu instid0(VALU_DEP_2) | instskip(SKIP_3) | instid1(VALU_DEP_2)
	v_add_f64_e32 v[217:218], v[213:214], v[211:212]
	scratch_store_b64 off, v[0:1], off offset:348 ; 8-byte Folded Spill
	v_fma_f64 v[211:212], v[65:66], s[28:29], v[0:1]
	v_mul_f64_e32 v[0:1], s[38:39], v[35:36]
	v_add_f64_e32 v[213:214], v[29:30], v[211:212]
	scratch_store_b64 off, v[0:1], off offset:332 ; 8-byte Folded Spill
	v_fma_f64 v[219:220], v[67:68], s[30:31], v[0:1]
	v_mul_f64_e32 v[0:1], s[26:27], v[33:34]
	s_delay_alu instid0(VALU_DEP_2) | instskip(SKIP_3) | instid1(VALU_DEP_2)
	v_add_f64_e32 v[219:220], v[219:220], v[213:214]
	scratch_store_b64 off, v[0:1], off offset:340 ; 8-byte Folded Spill
	v_fma_f64 v[221:222], v[71:72], s[42:43], v[0:1]
	v_mul_f64_e32 v[0:1], s[40:41], v[27:28]
	;; [unrolled: 9-line block ×5, first 2 shown]
	v_add_f64_e32 v[235:236], v[231:232], v[229:230]
	scratch_store_b64 off, v[0:1], off offset:428 ; 8-byte Folded Spill
	v_fma_f64 v[229:230], v[89:90], s[6:7], v[0:1]
	v_mul_f64_e32 v[0:1], s[14:15], v[8:9]
	s_delay_alu instid0(VALU_DEP_2) | instskip(NEXT) | instid1(VALU_DEP_2)
	v_add_f64_e32 v[233:234], v[229:230], v[233:234]
	v_fma_f64 v[237:238], v[91:92], s[56:57], v[0:1]
	scratch_store_b64 off, v[0:1], off offset:420 ; 8-byte Folded Spill
	v_add_f64_e32 v[0:1], v[237:238], v[235:236]
	v_fma_f64 v[237:238], v[97:98], s[14:15], v[14:15]
	v_mul_f64_e32 v[14:15], s[24:25], v[4:5]
	s_delay_alu instid0(VALU_DEP_2) | instskip(SKIP_3) | instid1(VALU_DEP_2)
	v_add_f64_e32 v[237:238], v[237:238], v[233:234]
	scratch_store_b64 off, v[14:15], off offset:436 ; 8-byte Folded Spill
	v_fma_f64 v[187:188], v[99:100], s[10:11], v[14:15]
	v_mul_f64_e32 v[14:15], s[10:11], v[2:3]
	v_add_f64_e32 v[187:188], v[187:188], v[237:238]
	s_delay_alu instid0(VALU_DEP_2) | instskip(NEXT) | instid1(VALU_DEP_1)
	v_fma_f64 v[193:194], v[105:106], s[52:53], v[14:15]
	v_add_f64_e32 v[0:1], v[193:194], v[0:1]
	s_delay_alu instid0(VALU_DEP_3) | instskip(NEXT) | instid1(VALU_DEP_2)
	v_mul_f64_e32 v[193:194], v[187:188], v[39:40]
	v_mul_f64_e32 v[39:40], v[0:1], v[39:40]
	s_delay_alu instid0(VALU_DEP_2) | instskip(SKIP_1) | instid1(VALU_DEP_3)
	v_fma_f64 v[41:42], v[0:1], v[61:62], v[193:194]
	v_mul_f64_e32 v[0:1], s[24:25], v[51:52]
	v_fma_f64 v[39:40], v[187:188], v[61:62], -v[39:40]
	scratch_store_b128 off, v[45:48], off offset:24 ; 16-byte Folded Spill
	v_fma_f64 v[187:188], v[63:64], s[40:41], v[129:130]
	v_mul_f64_e32 v[47:48], s[6:7], v[8:9]
	v_mul_f64_e32 v[61:62], s[30:31], v[2:3]
	;; [unrolled: 1-line block ×3, first 2 shown]
	scratch_store_b128 off, v[39:42], off offset:40 ; 16-byte Folded Spill
	v_fma_f64 v[39:40], v[55:56], s[56:57], v[131:132]
	s_delay_alu instid0(VALU_DEP_1) | instskip(NEXT) | instid1(VALU_DEP_1)
	v_add_f64_e32 v[39:40], v[31:32], v[39:40]
	v_add_f64_e32 v[39:40], v[187:188], v[39:40]
	v_mul_f64_e32 v[187:188], s[22:23], v[51:52]
	v_mul_f64_e32 v[51:52], s[42:43], v[51:52]
	s_delay_alu instid0(VALU_DEP_2) | instskip(NEXT) | instid1(VALU_DEP_1)
	v_fma_f64 v[193:194], v[65:66], s[14:15], v[187:188]
	v_add_f64_e32 v[193:194], v[29:30], v[193:194]
	s_delay_alu instid0(VALU_DEP_1) | instskip(SKIP_1) | instid1(VALU_DEP_1)
	v_add_f64_e32 v[193:194], v[199:200], v[193:194]
	v_mul_f64_e32 v[199:200], s[20:21], v[33:34]
	v_fma_f64 v[203:204], v[71:72], s[48:49], v[199:200]
	s_delay_alu instid0(VALU_DEP_1) | instskip(SKIP_1) | instid1(VALU_DEP_1)
	v_add_f64_e32 v[39:40], v[203:204], v[39:40]
	v_mul_f64_e32 v[203:204], s[36:37], v[27:28]
	v_fma_f64 v[205:206], v[73:74], s[20:21], v[203:204]
	;; [unrolled: 4-line block ×12, first 2 shown]
	s_delay_alu instid0(VALU_DEP_1) | instskip(NEXT) | instid1(VALU_DEP_4)
	v_add_f64_e32 v[39:40], v[225:226], v[39:40]
	v_mul_f64_e32 v[225:226], v[193:194], v[87:88]
	s_delay_alu instid0(VALU_DEP_2) | instskip(NEXT) | instid1(VALU_DEP_2)
	v_mul_f64_e32 v[87:88], v[39:40], v[87:88]
	v_fma_f64 v[41:42], v[39:40], v[85:86], v[225:226]
	v_mul_f64_e32 v[225:226], s[10:11], v[43:44]
	s_delay_alu instid0(VALU_DEP_3)
	v_fma_f64 v[39:40], v[193:194], v[85:86], -v[87:88]
	v_mul_f64_e32 v[193:194], s[20:21], v[37:38]
	scratch_store_b64 off, v[14:15], off offset:468 ; 8-byte Folded Spill
	v_fma_f64 v[85:86], v[63:64], s[24:25], v[225:226]
	v_fma_f64 v[87:88], v[67:68], s[10:11], v[117:118]
	v_mul_f64_e32 v[14:15], s[6:7], v[33:34]
	scratch_store_b128 off, v[39:42], off offset:56 ; 16-byte Folded Spill
	v_fma_f64 v[39:40], v[55:56], s[36:37], v[193:194]
	s_delay_alu instid0(VALU_DEP_1) | instskip(NEXT) | instid1(VALU_DEP_1)
	v_add_f64_e32 v[39:40], v[31:32], v[39:40]
	v_add_f64_e32 v[39:40], v[85:86], v[39:40]
	v_fma_f64 v[85:86], v[65:66], s[20:21], v[121:122]
	s_delay_alu instid0(VALU_DEP_1) | instskip(NEXT) | instid1(VALU_DEP_1)
	v_add_f64_e32 v[85:86], v[29:30], v[85:86]
	v_add_f64_e32 v[85:86], v[87:88], v[85:86]
	v_fma_f64 v[87:88], v[71:72], s[44:45], v[103:104]
	s_delay_alu instid0(VALU_DEP_1) | instskip(SKIP_1) | instid1(VALU_DEP_1)
	v_add_f64_e32 v[39:40], v[87:88], v[39:40]
	v_fma_f64 v[87:88], v[73:74], s[18:19], v[115:116]
	v_add_f64_e32 v[85:86], v[87:88], v[85:86]
	v_fma_f64 v[87:88], v[75:76], s[50:51], v[95:96]
	s_delay_alu instid0(VALU_DEP_1) | instskip(SKIP_1) | instid1(VALU_DEP_1)
	v_add_f64_e32 v[39:40], v[87:88], v[39:40]
	v_fma_f64 v[87:88], v[79:80], s[28:29], v[111:112]
	;; [unrolled: 5-line block ×6, first 2 shown]
	v_add_f64_e32 v[39:40], v[87:88], v[39:40]
	s_delay_alu instid0(VALU_DEP_3) | instskip(NEXT) | instid1(VALU_DEP_2)
	v_mul_f64_e32 v[87:88], v[85:86], v[107:108]
	v_mul_f64_e32 v[107:108], v[39:40], v[107:108]
	s_delay_alu instid0(VALU_DEP_2) | instskip(NEXT) | instid1(VALU_DEP_2)
	v_fma_f64 v[41:42], v[39:40], v[113:114], v[87:88]
	v_fma_f64 v[39:40], v[85:86], v[113:114], -v[107:108]
	v_mul_f64_e32 v[107:108], s[30:31], v[37:38]
	scratch_store_b64 off, v[143:144], off offset:668 ; 8-byte Folded Spill
	v_fma_f64 v[85:86], v[63:64], s[48:49], v[19:20]
	v_mul_f64_e32 v[113:114], s[36:37], v[35:36]
	scratch_store_b128 off, v[39:42], off offset:72 ; 16-byte Folded Spill
	v_fma_f64 v[39:40], v[55:56], s[54:55], v[107:108]
	v_mul_f64_e32 v[41:42], s[8:9], v[27:28]
	v_fma_f64 v[87:88], v[67:68], s[20:21], v[113:114]
	s_delay_alu instid0(VALU_DEP_3) | instskip(NEXT) | instid1(VALU_DEP_1)
	v_add_f64_e32 v[39:40], v[31:32], v[39:40]
	v_add_f64_e32 v[39:40], v[85:86], v[39:40]
	v_fma_f64 v[85:86], v[65:66], s[30:31], v[45:46]
	s_delay_alu instid0(VALU_DEP_1) | instskip(NEXT) | instid1(VALU_DEP_1)
	v_add_f64_e32 v[85:86], v[29:30], v[85:86]
	v_add_f64_e32 v[85:86], v[87:88], v[85:86]
	v_fma_f64 v[87:88], v[71:72], s[46:47], v[14:15]
	s_delay_alu instid0(VALU_DEP_1) | instskip(SKIP_1) | instid1(VALU_DEP_1)
	v_add_f64_e32 v[39:40], v[87:88], v[39:40]
	v_fma_f64 v[87:88], v[73:74], s[6:7], v[41:42]
	v_add_f64_e32 v[85:86], v[87:88], v[85:86]
	v_mul_f64_e32 v[87:88], s[10:11], v[25:26]
	s_delay_alu instid0(VALU_DEP_1) | instskip(NEXT) | instid1(VALU_DEP_1)
	v_fma_f64 v[227:228], v[75:76], s[52:53], v[87:88]
	v_add_f64_e32 v[39:40], v[227:228], v[39:40]
	v_mul_f64_e32 v[227:228], s[24:25], v[23:24]
	s_delay_alu instid0(VALU_DEP_1) | instskip(NEXT) | instid1(VALU_DEP_1)
	;; [unrolled: 4-line block ×10, first 2 shown]
	v_fma_f64 v[241:242], v[105:106], s[34:35], v[243:244]
	v_add_f64_e32 v[39:40], v[241:242], v[39:40]
	s_delay_alu instid0(VALU_DEP_4) | instskip(NEXT) | instid1(VALU_DEP_2)
	v_mul_f64_e32 v[241:242], v[85:86], v[119:120]
	v_mul_f64_e32 v[119:120], v[39:40], v[119:120]
	s_delay_alu instid0(VALU_DEP_2) | instskip(SKIP_1) | instid1(VALU_DEP_3)
	v_fma_f64 v[145:146], v[39:40], v[123:124], v[241:242]
	v_mul_f64_e32 v[241:242], s[28:29], v[43:44]
	v_fma_f64 v[143:144], v[85:86], v[123:124], -v[119:120]
	v_mul_f64_e32 v[85:86], s[10:11], v[37:38]
	s_delay_alu instid0(VALU_DEP_3)
	v_fma_f64 v[119:120], v[63:64], s[34:35], v[241:242]
	v_mul_f64_e32 v[123:124], s[50:51], v[35:36]
	v_mul_f64_e32 v[37:38], s[26:27], v[37:38]
	scratch_store_b128 off, v[143:146], off offset:88 ; 16-byte Folded Spill
	v_fma_f64 v[39:40], v[55:56], s[52:53], v[85:86]
	v_fma_f64 v[239:240], v[67:68], s[28:29], v[123:124]
	s_delay_alu instid0(VALU_DEP_2) | instskip(NEXT) | instid1(VALU_DEP_1)
	v_add_f64_e32 v[39:40], v[31:32], v[39:40]
	v_add_f64_e32 v[39:40], v[119:120], v[39:40]
	v_fma_f64 v[119:120], v[65:66], s[10:11], v[0:1]
	v_fma_f64 v[0:1], v[65:66], s[10:11], -v[0:1]
	s_delay_alu instid0(VALU_DEP_2) | instskip(NEXT) | instid1(VALU_DEP_2)
	v_add_f64_e32 v[119:120], v[29:30], v[119:120]
	v_add_f64_e32 v[0:1], v[29:30], v[0:1]
	s_delay_alu instid0(VALU_DEP_2) | instskip(SKIP_1) | instid1(VALU_DEP_1)
	v_add_f64_e32 v[119:120], v[239:240], v[119:120]
	v_mul_f64_e32 v[239:240], s[14:15], v[33:34]
	v_fma_f64 v[195:196], v[71:72], s[56:57], v[239:240]
	s_delay_alu instid0(VALU_DEP_1) | instskip(SKIP_2) | instid1(VALU_DEP_2)
	v_add_f64_e32 v[39:40], v[195:196], v[39:40]
	v_mul_f64_e32 v[195:196], s[22:23], v[27:28]
	v_mul_f64_e32 v[27:28], s[24:25], v[27:28]
	v_fma_f64 v[181:182], v[73:74], s[14:15], v[195:196]
	s_delay_alu instid0(VALU_DEP_1) | instskip(SKIP_2) | instid1(VALU_DEP_2)
	v_add_f64_e32 v[119:120], v[181:182], v[119:120]
	v_mul_f64_e32 v[181:182], s[30:31], v[25:26]
	;; [unrolled: 5-line block ×11, first 2 shown]
	v_mul_f64_e32 v[2:3], s[14:15], v[2:3]
	v_fma_f64 v[145:146], v[105:106], s[36:37], v[143:144]
	s_delay_alu instid0(VALU_DEP_1) | instskip(SKIP_1) | instid1(VALU_DEP_2)
	v_add_f64_e32 v[39:40], v[145:146], v[39:40]
	v_mul_f64_e32 v[145:146], v[119:120], v[127:128]
	v_mul_f64_e32 v[127:128], v[39:40], v[127:128]
	s_delay_alu instid0(VALU_DEP_2) | instskip(SKIP_4) | instid1(VALU_DEP_4)
	v_fma_f64 v[147:148], v[39:40], v[125:126], v[145:146]
	v_mul_f64_e32 v[39:40], s[6:7], v[43:44]
	v_fma_f64 v[43:44], v[55:56], s[40:41], v[37:38]
	v_fma_f64 v[37:38], v[55:56], s[42:43], v[37:38]
	v_fma_f64 v[145:146], v[119:120], v[125:126], -v[127:128]
	v_fma_f64 v[119:120], v[63:64], s[8:9], v[39:40]
	s_delay_alu instid0(VALU_DEP_4) | instskip(NEXT) | instid1(VALU_DEP_4)
	v_add_f64_e32 v[43:44], v[31:32], v[43:44]
	v_add_f64_e32 v[37:38], v[31:32], v[37:38]
	v_fma_f64 v[39:40], v[63:64], s[46:47], v[39:40]
	s_delay_alu instid0(VALU_DEP_3) | instskip(SKIP_2) | instid1(VALU_DEP_4)
	v_add_f64_e32 v[43:44], v[119:120], v[43:44]
	v_mul_f64_e32 v[119:120], s[46:47], v[35:36]
	v_fma_f64 v[35:36], v[65:66], s[26:27], v[51:52]
	v_add_f64_e32 v[37:38], v[39:40], v[37:38]
	v_fma_f64 v[39:40], v[65:66], s[26:27], -v[51:52]
	s_delay_alu instid0(VALU_DEP_4) | instskip(NEXT) | instid1(VALU_DEP_4)
	v_fma_f64 v[125:126], v[67:68], s[6:7], v[119:120]
	v_add_f64_e32 v[35:36], v[29:30], v[35:36]
	s_delay_alu instid0(VALU_DEP_3) | instskip(NEXT) | instid1(VALU_DEP_2)
	v_add_f64_e32 v[39:40], v[29:30], v[39:40]
	v_add_f64_e32 v[35:36], v[125:126], v[35:36]
	v_mul_f64_e32 v[125:126], s[10:11], v[33:34]
	s_delay_alu instid0(VALU_DEP_1) | instskip(NEXT) | instid1(VALU_DEP_1)
	v_fma_f64 v[33:34], v[71:72], s[52:53], v[125:126]
	v_add_f64_e32 v[33:34], v[33:34], v[43:44]
	v_fma_f64 v[43:44], v[73:74], s[10:11], v[27:28]
	v_fma_f64 v[27:28], v[73:74], s[10:11], -v[27:28]
	s_delay_alu instid0(VALU_DEP_2) | instskip(SKIP_2) | instid1(VALU_DEP_2)
	v_add_f64_e32 v[35:36], v[43:44], v[35:36]
	v_fma_f64 v[43:44], v[75:76], s[44:45], v[25:26]
	v_fma_f64 v[25:26], v[75:76], s[16:17], v[25:26]
	v_add_f64_e32 v[33:34], v[43:44], v[33:34]
	v_fma_f64 v[43:44], v[79:80], s[18:19], v[23:24]
	v_fma_f64 v[23:24], v[79:80], s[18:19], -v[23:24]
	s_delay_alu instid0(VALU_DEP_2) | instskip(SKIP_2) | instid1(VALU_DEP_2)
	v_add_f64_e32 v[35:36], v[43:44], v[35:36]
	v_fma_f64 v[43:44], v[77:78], s[54:55], v[21:22]
	;; [unrolled: 7-line block ×5, first 2 shown]
	v_fma_f64 v[4:5], v[99:100], s[14:15], -v[4:5]
	v_add_f64_e32 v[43:44], v[43:44], v[35:36]
	v_fma_f64 v[35:36], v[105:106], s[22:23], v[2:3]
	v_fma_f64 v[2:3], v[105:106], s[56:57], v[2:3]
	s_delay_alu instid0(VALU_DEP_2) | instskip(NEXT) | instid1(VALU_DEP_4)
	v_add_f64_e32 v[33:34], v[35:36], v[33:34]
	v_mul_f64_e32 v[35:36], v[43:44], v[135:136]
	s_delay_alu instid0(VALU_DEP_2) | instskip(NEXT) | instid1(VALU_DEP_2)
	v_mul_f64_e32 v[127:128], v[33:34], v[135:136]
	v_fma_f64 v[35:36], v[33:34], v[137:138], v[35:36]
	s_delay_alu instid0(VALU_DEP_2) | instskip(SKIP_1) | instid1(VALU_DEP_1)
	v_fma_f64 v[33:34], v[43:44], v[137:138], -v[127:128]
	v_fma_f64 v[43:44], v[67:68], s[6:7], -v[119:120]
	v_add_f64_e32 v[39:40], v[43:44], v[39:40]
	v_fma_f64 v[43:44], v[71:72], s[24:25], v[125:126]
	s_delay_alu instid0(VALU_DEP_2) | instskip(NEXT) | instid1(VALU_DEP_2)
	v_add_f64_e32 v[27:28], v[27:28], v[39:40]
	v_add_f64_e32 v[37:38], v[43:44], v[37:38]
	s_delay_alu instid0(VALU_DEP_2) | instskip(NEXT) | instid1(VALU_DEP_2)
	v_add_f64_e32 v[23:24], v[23:24], v[27:28]
	v_add_f64_e32 v[25:26], v[25:26], v[37:38]
	;; [unrolled: 3-line block ×4, first 2 shown]
	scratch_load_b64 v[16:17], off, off offset:104 th:TH_LOAD_LU ; 8-byte Folded Reload
	v_add_f64_e32 v[6:7], v[6:7], v[10:11]
	v_add_f64_e32 v[8:9], v[8:9], v[12:13]
	scratch_load_b64 v[10:11], off, off offset:300 th:TH_LOAD_LU ; 8-byte Folded Reload
	v_add_f64_e32 v[4:5], v[4:5], v[6:7]
	v_add_f64_e32 v[2:3], v[2:3], v[8:9]
	s_delay_alu instid0(VALU_DEP_2) | instskip(NEXT) | instid1(VALU_DEP_2)
	v_mul_f64_e32 v[6:7], v[4:5], v[139:140]
	v_mul_f64_e32 v[8:9], v[2:3], v[139:140]
	s_delay_alu instid0(VALU_DEP_2) | instskip(SKIP_1) | instid1(VALU_DEP_3)
	v_fma_f64 v[39:40], v[2:3], v[141:142], v[6:7]
	v_fma_f64 v[2:3], v[55:56], s[24:25], v[85:86]
	v_fma_f64 v[37:38], v[4:5], v[141:142], -v[8:9]
	v_fma_f64 v[4:5], v[63:64], s[50:51], v[241:242]
	s_clause 0x1
	scratch_load_b64 v[6:7], off, off offset:732 th:TH_LOAD_LU
	scratch_load_b64 v[8:9], off, off offset:724 th:TH_LOAD_LU
	v_add_f64_e32 v[2:3], v[31:32], v[2:3]
	s_delay_alu instid0(VALU_DEP_1) | instskip(SKIP_1) | instid1(VALU_DEP_1)
	v_add_f64_e32 v[2:3], v[4:5], v[2:3]
	v_fma_f64 v[4:5], v[67:68], s[28:29], -v[123:124]
	v_add_f64_e32 v[0:1], v[4:5], v[0:1]
	v_fma_f64 v[4:5], v[71:72], s[22:23], v[239:240]
	s_delay_alu instid0(VALU_DEP_1) | instskip(SKIP_1) | instid1(VALU_DEP_1)
	v_add_f64_e32 v[2:3], v[4:5], v[2:3]
	v_fma_f64 v[4:5], v[73:74], s[14:15], -v[195:196]
	v_add_f64_e32 v[0:1], v[4:5], v[0:1]
	v_fma_f64 v[4:5], v[75:76], s[54:55], v[181:182]
	;; [unrolled: 5-line block ×5, first 2 shown]
	s_delay_alu instid0(VALU_DEP_1) | instskip(SKIP_1) | instid1(VALU_DEP_1)
	v_add_f64_e32 v[2:3], v[4:5], v[2:3]
	v_fma_f64 v[4:5], v[97:98], s[18:19], -v[165:166]
	v_add_f64_e32 v[0:1], v[4:5], v[0:1]
	v_fma_f64 v[4:5], v[99:100], s[20:21], -v[245:246]
	s_delay_alu instid0(VALU_DEP_1) | instskip(SKIP_1) | instid1(VALU_DEP_1)
	v_add_f64_e32 v[0:1], v[4:5], v[0:1]
	v_fma_f64 v[4:5], v[105:106], s[48:49], v[143:144]
	v_add_f64_e32 v[2:3], v[4:5], v[2:3]
	s_wait_loadcnt 0x1
	s_delay_alu instid0(VALU_DEP_3) | instskip(NEXT) | instid1(VALU_DEP_2)
	v_mul_f64_e32 v[4:5], v[0:1], v[6:7]
	v_mul_f64_e32 v[6:7], v[2:3], v[6:7]
	s_wait_loadcnt 0x0
	s_delay_alu instid0(VALU_DEP_2)
	v_fma_f64 v[23:24], v[2:3], v[8:9], v[4:5]
	v_fma_f64 v[2:3], v[63:64], s[36:37], v[19:20]
	v_fma_f64 v[4:5], v[67:68], s[20:21], -v[113:114]
	scratch_load_b64 v[18:19], off, off offset:332 th:TH_LOAD_LU ; 8-byte Folded Reload
	v_fma_f64 v[21:22], v[0:1], v[8:9], -v[6:7]
	v_fma_f64 v[0:1], v[55:56], s[38:39], v[107:108]
	s_clause 0x1
	scratch_load_b64 v[6:7], off, off offset:708 th:TH_LOAD_LU
	scratch_load_b64 v[8:9], off, off offset:700 th:TH_LOAD_LU
	v_add_f64_e32 v[0:1], v[31:32], v[0:1]
	s_delay_alu instid0(VALU_DEP_1) | instskip(SKIP_1) | instid1(VALU_DEP_1)
	v_add_f64_e32 v[0:1], v[2:3], v[0:1]
	v_fma_f64 v[2:3], v[71:72], s[8:9], v[14:15]
	v_add_f64_e32 v[0:1], v[2:3], v[0:1]
	v_fma_f64 v[2:3], v[75:76], s[24:25], v[87:88]
	s_delay_alu instid0(VALU_DEP_1) | instskip(SKIP_1) | instid1(VALU_DEP_1)
	v_add_f64_e32 v[0:1], v[2:3], v[0:1]
	v_fma_f64 v[2:3], v[77:78], s[56:57], v[229:230]
	v_add_f64_e32 v[0:1], v[2:3], v[0:1]
	v_fma_f64 v[2:3], v[83:84], s[44:45], v[233:234]
	s_delay_alu instid0(VALU_DEP_1) | instskip(SKIP_1) | instid1(VALU_DEP_1)
	v_add_f64_e32 v[0:1], v[2:3], v[0:1]
	v_fma_f64 v[2:3], v[91:92], s[42:43], v[237:238]
	v_add_f64_e32 v[0:1], v[2:3], v[0:1]
	v_fma_f64 v[2:3], v[65:66], s[30:31], -v[45:46]
	s_wait_loadcnt 0x2
	v_fma_f64 v[18:19], v[67:68], s[30:31], -v[18:19]
	s_delay_alu instid0(VALU_DEP_2) | instskip(NEXT) | instid1(VALU_DEP_1)
	v_add_f64_e32 v[2:3], v[29:30], v[2:3]
	v_add_f64_e32 v[2:3], v[4:5], v[2:3]
	v_fma_f64 v[4:5], v[73:74], s[6:7], -v[41:42]
	s_delay_alu instid0(VALU_DEP_1) | instskip(SKIP_1) | instid1(VALU_DEP_1)
	v_add_f64_e32 v[2:3], v[4:5], v[2:3]
	v_fma_f64 v[4:5], v[79:80], s[10:11], -v[227:228]
	v_add_f64_e32 v[2:3], v[4:5], v[2:3]
	v_fma_f64 v[4:5], v[81:82], s[14:15], -v[231:232]
	s_delay_alu instid0(VALU_DEP_1) | instskip(SKIP_1) | instid1(VALU_DEP_1)
	v_add_f64_e32 v[2:3], v[4:5], v[2:3]
	v_fma_f64 v[4:5], v[89:90], s[18:19], -v[235:236]
	;; [unrolled: 5-line block ×3, first 2 shown]
	v_add_f64_e32 v[2:3], v[4:5], v[2:3]
	v_fma_f64 v[4:5], v[105:106], s[50:51], v[243:244]
	s_delay_alu instid0(VALU_DEP_1) | instskip(SKIP_1) | instid1(VALU_DEP_3)
	v_add_f64_e32 v[0:1], v[4:5], v[0:1]
	s_wait_loadcnt 0x1
	v_mul_f64_e32 v[4:5], v[2:3], v[6:7]
	s_delay_alu instid0(VALU_DEP_2) | instskip(SKIP_1) | instid1(VALU_DEP_2)
	v_mul_f64_e32 v[6:7], v[0:1], v[6:7]
	s_wait_loadcnt 0x0
	v_fma_f64 v[27:28], v[0:1], v[8:9], v[4:5]
	v_fma_f64 v[0:1], v[55:56], s[48:49], v[193:194]
	v_fma_f64 v[4:5], v[67:68], s[10:11], -v[117:118]
	s_delay_alu instid0(VALU_DEP_4) | instskip(SKIP_1) | instid1(VALU_DEP_4)
	v_fma_f64 v[25:26], v[2:3], v[8:9], -v[6:7]
	v_fma_f64 v[2:3], v[63:64], s[52:53], v[225:226]
	v_add_f64_e32 v[0:1], v[31:32], v[0:1]
	s_clause 0x1
	scratch_load_b64 v[6:7], off, off offset:484 th:TH_LOAD_LU
	scratch_load_b64 v[8:9], off, off offset:476 th:TH_LOAD_LU
	v_add_f64_e32 v[0:1], v[2:3], v[0:1]
	v_fma_f64 v[2:3], v[71:72], s[16:17], v[103:104]
	s_delay_alu instid0(VALU_DEP_1) | instskip(SKIP_1) | instid1(VALU_DEP_1)
	v_add_f64_e32 v[0:1], v[2:3], v[0:1]
	v_fma_f64 v[2:3], v[75:76], s[34:35], v[95:96]
	v_add_f64_e32 v[0:1], v[2:3], v[0:1]
	v_fma_f64 v[2:3], v[77:78], s[42:43], v[53:54]
	s_delay_alu instid0(VALU_DEP_1) | instskip(SKIP_1) | instid1(VALU_DEP_1)
	v_add_f64_e32 v[0:1], v[2:3], v[0:1]
	v_fma_f64 v[2:3], v[83:84], s[56:57], v[49:50]
	v_add_f64_e32 v[0:1], v[2:3], v[0:1]
	v_fma_f64 v[2:3], v[91:92], s[8:9], v[47:48]
	s_delay_alu instid0(VALU_DEP_1) | instskip(SKIP_1) | instid1(VALU_DEP_1)
	v_add_f64_e32 v[0:1], v[2:3], v[0:1]
	v_fma_f64 v[2:3], v[65:66], s[20:21], -v[121:122]
	v_add_f64_e32 v[2:3], v[29:30], v[2:3]
	s_delay_alu instid0(VALU_DEP_1) | instskip(SKIP_1) | instid1(VALU_DEP_1)
	v_add_f64_e32 v[2:3], v[4:5], v[2:3]
	v_fma_f64 v[4:5], v[73:74], s[18:19], -v[115:116]
	v_add_f64_e32 v[2:3], v[4:5], v[2:3]
	v_fma_f64 v[4:5], v[79:80], s[28:29], -v[111:112]
	s_delay_alu instid0(VALU_DEP_1) | instskip(SKIP_1) | instid1(VALU_DEP_1)
	v_add_f64_e32 v[2:3], v[4:5], v[2:3]
	v_fma_f64 v[4:5], v[81:82], s[26:27], -v[109:110]
	v_add_f64_e32 v[2:3], v[4:5], v[2:3]
	v_fma_f64 v[4:5], v[89:90], s[14:15], -v[101:102]
	;; [unrolled: 5-line block ×3, first 2 shown]
	s_delay_alu instid0(VALU_DEP_1) | instskip(SKIP_1) | instid1(VALU_DEP_1)
	v_add_f64_e32 v[2:3], v[4:5], v[2:3]
	v_fma_f64 v[4:5], v[105:106], s[38:39], v[61:62]
	v_add_f64_e32 v[0:1], v[4:5], v[0:1]
	s_wait_loadcnt 0x1
	s_delay_alu instid0(VALU_DEP_3) | instskip(NEXT) | instid1(VALU_DEP_2)
	v_mul_f64_e32 v[4:5], v[2:3], v[6:7]
	v_mul_f64_e32 v[6:7], v[0:1], v[6:7]
	s_wait_loadcnt 0x0
	s_delay_alu instid0(VALU_DEP_2)
	v_fma_f64 v[51:52], v[0:1], v[8:9], v[4:5]
	s_clause 0x1
	scratch_load_b64 v[4:5], off, off offset:128 th:TH_LOAD_LU
	scratch_load_b64 v[14:15], off, off offset:112 th:TH_LOAD_LU
	v_fma_f64 v[49:50], v[2:3], v[8:9], -v[6:7]
	s_clause 0x1
	scratch_load_b64 v[2:3], off, off offset:120 th:TH_LOAD_LU
	scratch_load_b64 v[6:7], off, off offset:308 th:TH_LOAD_LU
	s_wait_loadcnt 0x1
	v_mul_f64_e32 v[0:1], v[2:3], v[59:60]
	s_delay_alu instid0(VALU_DEP_1)
	v_fma_f64 v[8:9], v[57:58], v[4:5], v[0:1]
	v_mul_f64_e32 v[0:1], v[4:5], v[59:60]
	scratch_load_b64 v[4:5], off, off offset:660 th:TH_LOAD_LU ; 8-byte Folded Reload
	v_fma_f64 v[12:13], v[57:58], v[2:3], -v[0:1]
	s_clause 0x1
	scratch_load_b64 v[0:1], off, off offset:652 th:TH_LOAD_LU
	scratch_load_b64 v[2:3], off, off offset:676 th:TH_LOAD_LU
	s_wait_loadcnt 0x1
	v_add_f64_e32 v[0:1], v[29:30], v[0:1]
	s_wait_loadcnt 0x0
	s_delay_alu instid0(VALU_DEP_1) | instskip(SKIP_3) | instid1(VALU_DEP_1)
	v_add_f64_e32 v[0:1], v[0:1], v[2:3]
	scratch_load_b64 v[2:3], off, off offset:636 th:TH_LOAD_LU ; 8-byte Folded Reload
	s_wait_loadcnt 0x0
	v_add_f64_e32 v[2:3], v[31:32], v[2:3]
	v_add_f64_e32 v[2:3], v[2:3], v[4:5]
	scratch_load_b64 v[4:5], off, off offset:692 th:TH_LOAD_LU ; 8-byte Folded Reload
	s_wait_loadcnt 0x0
	v_add_f64_e32 v[0:1], v[0:1], v[4:5]
	scratch_load_b64 v[4:5], off, off offset:684 th:TH_LOAD_LU ; 8-byte Folded Reload
	v_add_f64_e32 v[0:1], v[0:1], v[149:150]
	s_delay_alu instid0(VALU_DEP_1) | instskip(NEXT) | instid1(VALU_DEP_1)
	v_add_f64_e32 v[0:1], v[0:1], v[163:164]
	v_add_f64_e32 v[0:1], v[0:1], v[177:178]
	s_delay_alu instid0(VALU_DEP_1) | instskip(NEXT) | instid1(VALU_DEP_1)
	v_add_f64_e32 v[0:1], v[0:1], v[189:190]
	;; [unrolled: 3-line block ×3, first 2 shown]
	v_add_f64_e32 v[0:1], v[0:1], v[191:192]
	s_delay_alu instid0(VALU_DEP_1)
	v_add_f64_e32 v[0:1], v[0:1], v[171:172]
	s_wait_loadcnt 0x0
	v_add_f64_e32 v[2:3], v[2:3], v[4:5]
	scratch_load_b64 v[4:5], off, off offset:716 th:TH_LOAD_LU ; 8-byte Folded Reload
	v_add_f64_e32 v[0:1], v[0:1], v[157:158]
	s_wait_loadcnt 0x0
	v_add_f64_e32 v[2:3], v[2:3], v[4:5]
	scratch_load_b64 v[4:5], off, off offset:668 th:TH_LOAD_LU ; 8-byte Folded Reload
	v_add_f64_e32 v[2:3], v[2:3], v[159:160]
	s_delay_alu instid0(VALU_DEP_1) | instskip(NEXT) | instid1(VALU_DEP_1)
	v_add_f64_e32 v[2:3], v[2:3], v[173:174]
	v_add_f64_e32 v[2:3], v[2:3], v[183:184]
	s_delay_alu instid0(VALU_DEP_1) | instskip(NEXT) | instid1(VALU_DEP_1)
	v_add_f64_e32 v[2:3], v[2:3], v[151:152]
	;; [unrolled: 3-line block ×3, first 2 shown]
	v_add_f64_e32 v[2:3], v[2:3], v[167:168]
	s_delay_alu instid0(VALU_DEP_1)
	v_add_f64_e32 v[2:3], v[2:3], v[155:156]
	s_wait_loadcnt 0x0
	v_add_f64_e32 v[0:1], v[0:1], v[4:5]
	scratch_load_b64 v[4:5], off, off offset:644 th:TH_LOAD_LU ; 8-byte Folded Reload
	s_wait_loadcnt 0x0
	v_add_f64_e32 v[2:3], v[2:3], v[4:5]
	scratch_load_b64 v[4:5], off, off offset:572 th:TH_LOAD_LU ; 8-byte Folded Reload
	;; [unrolled: 3-line block ×7, first 2 shown]
	s_wait_loadcnt 0x0
	v_add_f64_e32 v[2:3], v[2:3], v[4:5]
	v_mul_f64_e32 v[4:5], v[0:1], v[6:7]
	s_delay_alu instid0(VALU_DEP_2) | instskip(NEXT) | instid1(VALU_DEP_2)
	v_mul_f64_e32 v[6:7], v[2:3], v[6:7]
	v_fma_f64 v[59:60], v[2:3], v[10:11], v[4:5]
	v_fma_f64 v[2:3], v[63:64], s[42:43], v[129:130]
	v_fma_f64 v[4:5], v[67:68], s[26:27], -v[133:134]
	s_delay_alu instid0(VALU_DEP_4)
	v_fma_f64 v[57:58], v[0:1], v[10:11], -v[6:7]
	v_fma_f64 v[0:1], v[55:56], s[22:23], v[131:132]
	s_clause 0x1
	scratch_load_b64 v[6:7], off, off offset:276 th:TH_LOAD_LU
	scratch_load_b64 v[10:11], off, off offset:268 th:TH_LOAD_LU
	v_add_f64_e32 v[0:1], v[31:32], v[0:1]
	s_delay_alu instid0(VALU_DEP_1) | instskip(SKIP_1) | instid1(VALU_DEP_1)
	v_add_f64_e32 v[0:1], v[2:3], v[0:1]
	v_fma_f64 v[2:3], v[71:72], s[36:37], v[199:200]
	v_add_f64_e32 v[0:1], v[2:3], v[0:1]
	v_fma_f64 v[2:3], v[75:76], s[46:47], v[205:206]
	s_delay_alu instid0(VALU_DEP_1) | instskip(SKIP_1) | instid1(VALU_DEP_1)
	v_add_f64_e32 v[0:1], v[2:3], v[0:1]
	v_fma_f64 v[2:3], v[77:78], s[34:35], v[209:210]
	v_add_f64_e32 v[0:1], v[2:3], v[0:1]
	v_fma_f64 v[2:3], v[83:84], s[24:25], v[213:214]
	s_delay_alu instid0(VALU_DEP_1) | instskip(SKIP_1) | instid1(VALU_DEP_1)
	v_add_f64_e32 v[0:1], v[2:3], v[0:1]
	v_fma_f64 v[2:3], v[65:66], s[14:15], -v[187:188]
	v_add_f64_e32 v[2:3], v[29:30], v[2:3]
	s_delay_alu instid0(VALU_DEP_1) | instskip(SKIP_1) | instid1(VALU_DEP_1)
	v_add_f64_e32 v[2:3], v[4:5], v[2:3]
	v_fma_f64 v[4:5], v[73:74], s[20:21], -v[203:204]
	v_add_f64_e32 v[2:3], v[4:5], v[2:3]
	v_fma_f64 v[4:5], v[79:80], s[6:7], -v[207:208]
	s_delay_alu instid0(VALU_DEP_1) | instskip(SKIP_1) | instid1(VALU_DEP_1)
	v_add_f64_e32 v[2:3], v[4:5], v[2:3]
	v_fma_f64 v[4:5], v[81:82], s[28:29], -v[211:212]
	v_add_f64_e32 v[2:3], v[4:5], v[2:3]
	v_fma_f64 v[4:5], v[89:90], s[10:11], -v[215:216]
	s_delay_alu instid0(VALU_DEP_1) | instskip(SKIP_1) | instid1(VALU_DEP_1)
	v_add_f64_e32 v[2:3], v[4:5], v[2:3]
	v_fma_f64 v[4:5], v[91:92], s[54:55], v[217:218]
	v_add_f64_e32 v[0:1], v[4:5], v[0:1]
	v_fma_f64 v[4:5], v[97:98], s[30:31], -v[219:220]
	s_delay_alu instid0(VALU_DEP_1) | instskip(SKIP_1) | instid1(VALU_DEP_1)
	v_add_f64_e32 v[2:3], v[4:5], v[2:3]
	v_fma_f64 v[4:5], v[99:100], s[18:19], -v[221:222]
	v_add_f64_e32 v[2:3], v[4:5], v[2:3]
	v_fma_f64 v[4:5], v[105:106], s[16:17], v[223:224]
	s_delay_alu instid0(VALU_DEP_1) | instskip(SKIP_1) | instid1(VALU_DEP_3)
	v_add_f64_e32 v[0:1], v[4:5], v[0:1]
	s_wait_loadcnt 0x1
	v_mul_f64_e32 v[4:5], v[2:3], v[6:7]
	s_delay_alu instid0(VALU_DEP_2) | instskip(SKIP_1) | instid1(VALU_DEP_2)
	v_mul_f64_e32 v[6:7], v[0:1], v[6:7]
	s_wait_loadcnt 0x0
	v_fma_f64 v[117:118], v[0:1], v[10:11], v[4:5]
	s_clause 0x1
	scratch_load_b64 v[0:1], off, off offset:492 th:TH_LOAD_LU
	scratch_load_b64 v[4:5], off, off offset:516 th:TH_LOAD_LU
	v_fma_f64 v[115:116], v[2:3], v[10:11], -v[6:7]
	s_clause 0x2
	scratch_load_b64 v[2:3], off, off offset:500 th:TH_LOAD_LU
	scratch_load_b64 v[6:7], off, off offset:144 th:TH_LOAD_LU
	;; [unrolled: 1-line block ×3, first 2 shown]
	s_wait_loadcnt 0x4
	v_fma_f64 v[0:1], v[55:56], s[44:45], v[0:1]
	s_wait_loadcnt 0x3
	v_fma_f64 v[4:5], v[67:68], s[14:15], -v[4:5]
	s_wait_loadcnt 0x2
	v_fma_f64 v[2:3], v[63:64], s[22:23], v[2:3]
	s_delay_alu instid0(VALU_DEP_3) | instskip(NEXT) | instid1(VALU_DEP_1)
	v_add_f64_e32 v[0:1], v[31:32], v[0:1]
	v_add_f64_e32 v[0:1], v[2:3], v[0:1]
	scratch_load_b64 v[2:3], off, off offset:508 th:TH_LOAD_LU ; 8-byte Folded Reload
	s_wait_loadcnt 0x0
	v_fma_f64 v[2:3], v[65:66], s[18:19], -v[2:3]
	s_delay_alu instid0(VALU_DEP_1) | instskip(NEXT) | instid1(VALU_DEP_1)
	v_add_f64_e32 v[2:3], v[29:30], v[2:3]
	v_add_f64_e32 v[2:3], v[4:5], v[2:3]
	scratch_load_b64 v[4:5], off, off offset:524 th:TH_LOAD_LU ; 8-byte Folded Reload
	s_wait_loadcnt 0x0
	v_fma_f64 v[4:5], v[71:72], s[38:39], v[4:5]
	s_delay_alu instid0(VALU_DEP_1) | instskip(SKIP_3) | instid1(VALU_DEP_1)
	v_add_f64_e32 v[0:1], v[4:5], v[0:1]
	scratch_load_b64 v[4:5], off, off offset:532 th:TH_LOAD_LU ; 8-byte Folded Reload
	s_wait_loadcnt 0x0
	v_fma_f64 v[4:5], v[73:74], s[30:31], -v[4:5]
	v_add_f64_e32 v[2:3], v[4:5], v[2:3]
	scratch_load_b64 v[4:5], off, off offset:540 th:TH_LOAD_LU ; 8-byte Folded Reload
	s_wait_loadcnt 0x0
	v_fma_f64 v[4:5], v[75:76], s[42:43], v[4:5]
	s_delay_alu instid0(VALU_DEP_1) | instskip(SKIP_3) | instid1(VALU_DEP_1)
	v_add_f64_e32 v[0:1], v[4:5], v[0:1]
	scratch_load_b64 v[4:5], off, off offset:556 th:TH_LOAD_LU ; 8-byte Folded Reload
	s_wait_loadcnt 0x0
	v_fma_f64 v[4:5], v[79:80], s[26:27], -v[4:5]
	;; [unrolled: 9-line block ×5, first 2 shown]
	v_add_f64_e32 v[2:3], v[4:5], v[2:3]
	scratch_load_b64 v[4:5], off, off offset:620 th:TH_LOAD_LU ; 8-byte Folded Reload
	s_wait_loadcnt 0x0
	v_fma_f64 v[4:5], v[99:100], s[6:7], -v[4:5]
	s_delay_alu instid0(VALU_DEP_1) | instskip(SKIP_3) | instid1(VALU_DEP_1)
	v_add_f64_e32 v[4:5], v[4:5], v[2:3]
	scratch_load_b64 v[2:3], off, off offset:628 th:TH_LOAD_LU ; 8-byte Folded Reload
	s_wait_loadcnt 0x0
	v_fma_f64 v[2:3], v[105:106], s[46:47], v[2:3]
	v_add_f64_e32 v[0:1], v[2:3], v[0:1]
	v_mul_f64_e32 v[2:3], v[4:5], v[6:7]
	s_delay_alu instid0(VALU_DEP_2) | instskip(NEXT) | instid1(VALU_DEP_2)
	v_mul_f64_e32 v[6:7], v[0:1], v[6:7]
	v_fma_f64 v[2:3], v[0:1], v[10:11], v[2:3]
	s_delay_alu instid0(VALU_DEP_2)
	v_fma_f64 v[0:1], v[4:5], v[10:11], -v[6:7]
	s_clause 0x2
	scratch_load_b64 v[4:5], off, off offset:152 th:TH_LOAD_LU
	scratch_load_b64 v[6:7], off, off offset:160 th:TH_LOAD_LU
	;; [unrolled: 1-line block ×3, first 2 shown]
	s_wait_loadcnt 0x2
	v_fma_f64 v[4:5], v[55:56], s[8:9], v[4:5]
	s_wait_loadcnt 0x1
	v_fma_f64 v[6:7], v[63:64], s[44:45], v[6:7]
	s_wait_loadcnt 0x0
	v_fma_f64 v[10:11], v[67:68], s[18:19], -v[10:11]
	s_delay_alu instid0(VALU_DEP_3) | instskip(NEXT) | instid1(VALU_DEP_1)
	v_add_f64_e32 v[4:5], v[31:32], v[4:5]
	v_add_f64_e32 v[4:5], v[6:7], v[4:5]
	scratch_load_b64 v[6:7], off, off offset:168 th:TH_LOAD_LU ; 8-byte Folded Reload
	s_wait_loadcnt 0x0
	v_fma_f64 v[6:7], v[65:66], s[6:7], -v[6:7]
	s_delay_alu instid0(VALU_DEP_1) | instskip(NEXT) | instid1(VALU_DEP_1)
	v_add_f64_e32 v[6:7], v[29:30], v[6:7]
	v_add_f64_e32 v[6:7], v[10:11], v[6:7]
	scratch_load_b64 v[10:11], off, off offset:184 th:TH_LOAD_LU ; 8-byte Folded Reload
	s_wait_loadcnt 0x0
	v_fma_f64 v[10:11], v[71:72], s[34:35], v[10:11]
	s_delay_alu instid0(VALU_DEP_1) | instskip(SKIP_3) | instid1(VALU_DEP_1)
	v_add_f64_e32 v[4:5], v[10:11], v[4:5]
	scratch_load_b64 v[10:11], off, off offset:192 th:TH_LOAD_LU ; 8-byte Folded Reload
	s_wait_loadcnt 0x0
	v_fma_f64 v[10:11], v[73:74], s[28:29], -v[10:11]
	v_add_f64_e32 v[6:7], v[10:11], v[6:7]
	scratch_load_b64 v[10:11], off, off offset:200 th:TH_LOAD_LU ; 8-byte Folded Reload
	s_wait_loadcnt 0x0
	v_fma_f64 v[10:11], v[75:76], s[22:23], v[10:11]
	s_delay_alu instid0(VALU_DEP_1) | instskip(SKIP_3) | instid1(VALU_DEP_1)
	v_add_f64_e32 v[4:5], v[10:11], v[4:5]
	scratch_load_b64 v[10:11], off, off offset:208 th:TH_LOAD_LU ; 8-byte Folded Reload
	s_wait_loadcnt 0x0
	v_fma_f64 v[10:11], v[79:80], s[14:15], -v[10:11]
	;; [unrolled: 9-line block ×5, first 2 shown]
	v_add_f64_e32 v[6:7], v[10:11], v[6:7]
	scratch_load_b64 v[10:11], off, off offset:284 th:TH_LOAD_LU ; 8-byte Folded Reload
	s_wait_loadcnt 0x0
	v_fma_f64 v[10:11], v[99:100], s[26:27], -v[10:11]
	s_delay_alu instid0(VALU_DEP_1) | instskip(SKIP_3) | instid1(VALU_DEP_1)
	v_add_f64_e32 v[10:11], v[10:11], v[6:7]
	scratch_load_b64 v[6:7], off, off offset:292 th:TH_LOAD_LU ; 8-byte Folded Reload
	s_wait_loadcnt 0x0
	v_fma_f64 v[6:7], v[105:106], s[42:43], v[6:7]
	v_add_f64_e32 v[4:5], v[6:7], v[4:5]
	v_mul_f64_e32 v[6:7], v[10:11], v[14:15]
	s_delay_alu instid0(VALU_DEP_2) | instskip(NEXT) | instid1(VALU_DEP_2)
	v_mul_f64_e32 v[14:15], v[4:5], v[14:15]
	v_fma_f64 v[6:7], v[4:5], v[16:17], v[6:7]
	s_delay_alu instid0(VALU_DEP_2)
	v_fma_f64 v[4:5], v[10:11], v[16:17], -v[14:15]
	s_clause 0x2
	scratch_load_b64 v[10:11], off, off offset:324 th:TH_LOAD_LU
	scratch_load_b64 v[14:15], off, off offset:348 th:TH_LOAD_LU
	;; [unrolled: 1-line block ×3, first 2 shown]
	s_wait_loadcnt 0x2
	v_fma_f64 v[10:11], v[55:56], s[34:35], v[10:11]
	s_wait_loadcnt 0x1
	v_fma_f64 v[14:15], v[65:66], s[28:29], -v[14:15]
	s_wait_loadcnt 0x0
	v_fma_f64 v[16:17], v[63:64], s[38:39], v[16:17]
	s_delay_alu instid0(VALU_DEP_3) | instskip(NEXT) | instid1(VALU_DEP_3)
	v_add_f64_e32 v[10:11], v[31:32], v[10:11]
	v_add_f64_e32 v[14:15], v[29:30], v[14:15]
	s_clause 0x1
	scratch_load_b64 v[29:30], off, off offset:372 th:TH_LOAD_LU
	scratch_load_b64 v[31:32], off, off offset:428 th:TH_LOAD_LU
	v_add_f64_e32 v[10:11], v[16:17], v[10:11]
	v_add_f64_e32 v[14:15], v[18:19], v[14:15]
	s_clause 0x1
	scratch_load_b64 v[18:19], off, off offset:388 th:TH_LOAD_LU
	scratch_load_b64 v[16:17], off, off offset:340 th:TH_LOAD_LU
	s_wait_loadcnt 0x3
	v_fma_f64 v[29:30], v[73:74], s[26:27], -v[29:30]
	s_wait_loadcnt 0x2
	v_fma_f64 v[31:32], v[89:90], s[6:7], -v[31:32]
	;; [unrolled: 2-line block ×3, first 2 shown]
	s_delay_alu instid0(VALU_DEP_3)
	v_add_f64_e32 v[14:15], v[29:30], v[14:15]
	scratch_load_b64 v[29:30], off, off offset:404 th:TH_LOAD_LU ; 8-byte Folded Reload
	v_add_f64_e32 v[14:15], v[18:19], v[14:15]
	scratch_load_b64 v[18:19], off, off offset:356 th:TH_LOAD_LU ; 8-byte Folded Reload
	s_wait_loadcnt 0x2
	v_fma_f64 v[16:17], v[71:72], s[40:41], v[16:17]
	s_delay_alu instid0(VALU_DEP_1)
	v_add_f64_e32 v[10:11], v[16:17], v[10:11]
	scratch_load_b64 v[16:17], off, off offset:364 th:TH_LOAD_LU ; 8-byte Folded Reload
	s_wait_loadcnt 0x2
	v_fma_f64 v[29:30], v[83:84], s[8:9], v[29:30]
	s_wait_loadcnt 0x1
	v_fma_f64 v[18:19], v[77:78], s[16:17], v[18:19]
	;; [unrolled: 2-line block ×3, first 2 shown]
	s_delay_alu instid0(VALU_DEP_1)
	v_add_f64_e32 v[10:11], v[16:17], v[10:11]
	scratch_load_b64 v[16:17], off, off offset:412 th:TH_LOAD_LU ; 8-byte Folded Reload
	v_add_f64_e32 v[10:11], v[18:19], v[10:11]
	scratch_load_b64 v[18:19], off, off offset:452 th:TH_LOAD_LU ; 8-byte Folded Reload
	;; [unrolled: 2-line block ×3, first 2 shown]
	s_wait_loadcnt 0x2
	v_fma_f64 v[16:17], v[81:82], s[18:19], -v[16:17]
	s_delay_alu instid0(VALU_DEP_1)
	v_add_f64_e32 v[14:15], v[16:17], v[14:15]
	scratch_load_b64 v[16:17], off, off offset:420 th:TH_LOAD_LU ; 8-byte Folded Reload
	s_wait_loadcnt 0x2
	v_fma_f64 v[18:19], v[97:98], s[14:15], -v[18:19]
	v_add_f64_e32 v[14:15], v[31:32], v[14:15]
	scratch_load_b64 v[31:32], off, off offset:436 th:TH_LOAD_LU ; 8-byte Folded Reload
	s_wait_loadcnt 0x2
	v_fma_f64 v[29:30], v[105:106], s[24:25], v[29:30]
	v_add_f64_e32 v[14:15], v[18:19], v[14:15]
	s_wait_loadcnt 0x1
	v_fma_f64 v[16:17], v[91:92], s[22:23], v[16:17]
	s_wait_loadcnt 0x0
	v_fma_f64 v[31:32], v[99:100], s[10:11], -v[31:32]
	s_delay_alu instid0(VALU_DEP_2) | instskip(NEXT) | instid1(VALU_DEP_2)
	v_add_f64_e32 v[10:11], v[16:17], v[10:11]
	v_add_f64_e32 v[14:15], v[31:32], v[14:15]
	s_delay_alu instid0(VALU_DEP_2) | instskip(NEXT) | instid1(VALU_DEP_2)
	v_add_f64_e32 v[10:11], v[29:30], v[10:11]
	v_mul_f64_e32 v[16:17], v[14:15], v[8:9]
	s_delay_alu instid0(VALU_DEP_2) | instskip(NEXT) | instid1(VALU_DEP_2)
	v_mul_f64_e32 v[8:9], v[10:11], v[8:9]
	v_fma_f64 v[10:11], v[10:11], v[12:13], v[16:17]
	s_delay_alu instid0(VALU_DEP_2) | instskip(SKIP_3) | instid1(VALU_DEP_1)
	v_fma_f64 v[8:9], v[14:15], v[12:13], -v[8:9]
	scratch_load_b32 v12, off, off offset:232 th:TH_LOAD_LU ; 4-byte Folded Reload
	s_wait_loadcnt 0x0
	v_mul_hi_u32 v12, 0x226b903, v12
	v_mad_u32_u24 v16, 0x121, v12, v255
	s_delay_alu instid0(VALU_DEP_1) | instskip(SKIP_1) | instid1(VALU_DEP_2)
	v_mad_co_u64_u32 v[12:13], null, s12, v16, 0
	v_add_nc_u32_e32 v19, 0xff, v16
	v_mad_co_u64_u32 v[13:14], null, s13, v16, v[13:14]
	scratch_load_b64 v[14:15], off, off th:TH_LOAD_LU ; 8-byte Folded Reload
	v_lshlrev_b64_e32 v[12:13], 4, v[12:13]
	s_wait_loadcnt 0x0
	v_lshlrev_b64_e32 v[14:15], 4, v[14:15]
	s_wait_alu 0xfffe
	s_delay_alu instid0(VALU_DEP_1) | instskip(SKIP_1) | instid1(VALU_DEP_2)
	v_add_co_u32 v17, vcc_lo, s0, v14
	s_wait_alu 0xfffd
	v_add_co_ci_u32_e32 v18, vcc_lo, s1, v15, vcc_lo
	v_add_nc_u32_e32 v14, 17, v16
	s_delay_alu instid0(VALU_DEP_3) | instskip(SKIP_1) | instid1(VALU_DEP_3)
	v_add_co_u32 v12, vcc_lo, v17, v12
	s_wait_alu 0xfffd
	v_add_co_ci_u32_e32 v13, vcc_lo, v18, v13, vcc_lo
	v_add_nc_u32_e32 v15, 0xbb, v16
	global_store_b128 v[12:13], v[57:60], off
	v_mad_co_u64_u32 v[12:13], null, s12, v14, 0
	s_delay_alu instid0(VALU_DEP_1) | instskip(SKIP_1) | instid1(VALU_DEP_2)
	v_mad_co_u64_u32 v[13:14], null, s13, v14, v[13:14]
	v_add_nc_u32_e32 v14, 0xaa, v16
	v_lshlrev_b64_e32 v[12:13], 4, v[12:13]
	s_delay_alu instid0(VALU_DEP_1) | instskip(SKIP_1) | instid1(VALU_DEP_2)
	v_add_co_u32 v12, vcc_lo, v17, v12
	s_wait_alu 0xfffd
	v_add_co_ci_u32_e32 v13, vcc_lo, v18, v13, vcc_lo
	global_store_b128 v[12:13], v[4:7], off
	v_add_nc_u32_e32 v6, 34, v16
	v_add_nc_u32_e32 v12, 51, v16
	s_delay_alu instid0(VALU_DEP_2) | instskip(NEXT) | instid1(VALU_DEP_1)
	v_mad_co_u64_u32 v[4:5], null, s12, v6, 0
	v_mad_co_u64_u32 v[5:6], null, s13, v6, v[5:6]
	s_delay_alu instid0(VALU_DEP_3) | instskip(NEXT) | instid1(VALU_DEP_2)
	v_mad_co_u64_u32 v[6:7], null, s12, v12, 0
	v_lshlrev_b64_e32 v[4:5], 4, v[4:5]
	s_delay_alu instid0(VALU_DEP_2) | instskip(SKIP_1) | instid1(VALU_DEP_3)
	v_mad_co_u64_u32 v[12:13], null, s13, v12, v[7:8]
	v_add_nc_u32_e32 v13, 0x99, v16
	v_add_co_u32 v4, vcc_lo, v17, v4
	s_wait_alu 0xfffd
	s_delay_alu instid0(VALU_DEP_4) | instskip(NEXT) | instid1(VALU_DEP_4)
	v_add_co_ci_u32_e32 v5, vcc_lo, v18, v5, vcc_lo
	v_dual_mov_b32 v7, v12 :: v_dual_add_nc_u32 v12, 0x44, v16
	global_store_b128 v[4:5], v[0:3], off
	v_lshlrev_b64_e32 v[6:7], 4, v[6:7]
	v_mad_co_u64_u32 v[0:1], null, s12, v12, 0
	s_delay_alu instid0(VALU_DEP_2) | instskip(SKIP_1) | instid1(VALU_DEP_3)
	v_add_co_u32 v2, vcc_lo, v17, v6
	s_wait_alu 0xfffd
	v_add_co_ci_u32_e32 v3, vcc_lo, v18, v7, vcc_lo
	v_add_nc_u32_e32 v7, 0x55, v16
	global_store_b128 v[2:3], v[8:11], off
	v_add_nc_u32_e32 v8, 0x66, v16
	v_mad_co_u64_u32 v[2:3], null, s12, v7, 0
	v_add_nc_u32_e32 v9, 0x77, v16
	v_add_nc_u32_e32 v11, 0x88, v16
	s_delay_alu instid0(VALU_DEP_3) | instskip(SKIP_1) | instid1(VALU_DEP_2)
	v_mad_co_u64_u32 v[4:5], null, s13, v12, v[1:2]
	v_mad_co_u64_u32 v[5:6], null, s12, v8, 0
	v_mov_b32_e32 v1, v4
	v_mad_co_u64_u32 v[3:4], null, s13, v7, v[3:4]
	s_delay_alu instid0(VALU_DEP_3) | instskip(NEXT) | instid1(VALU_DEP_3)
	v_mov_b32_e32 v4, v6
	v_lshlrev_b64_e32 v[0:1], 4, v[0:1]
	s_delay_alu instid0(VALU_DEP_2) | instskip(SKIP_1) | instid1(VALU_DEP_3)
	v_mad_co_u64_u32 v[6:7], null, s13, v8, v[4:5]
	v_mad_co_u64_u32 v[7:8], null, s12, v9, 0
	v_add_co_u32 v0, vcc_lo, v17, v0
	s_wait_alu 0xfffd
	s_delay_alu instid0(VALU_DEP_4) | instskip(SKIP_1) | instid1(VALU_DEP_4)
	v_add_co_ci_u32_e32 v1, vcc_lo, v18, v1, vcc_lo
	v_lshlrev_b64_e32 v[2:3], 4, v[2:3]
	v_mov_b32_e32 v4, v8
	global_store_b128 v[0:1], v[115:118], off
	v_lshlrev_b64_e32 v[0:1], 4, v[5:6]
	v_mad_co_u64_u32 v[5:6], null, s12, v11, 0
	v_add_co_u32 v2, vcc_lo, v17, v2
	s_wait_alu 0xfffd
	v_add_co_ci_u32_e32 v3, vcc_lo, v18, v3, vcc_lo
	s_delay_alu instid0(VALU_DEP_4) | instskip(NEXT) | instid1(VALU_DEP_4)
	v_add_co_u32 v0, vcc_lo, v17, v0
	v_mad_co_u64_u32 v[8:9], null, s13, v9, v[4:5]
	v_mov_b32_e32 v4, v6
	v_mad_co_u64_u32 v[9:10], null, s12, v13, 0
	s_wait_alu 0xfffd
	v_add_co_ci_u32_e32 v1, vcc_lo, v18, v1, vcc_lo
	s_delay_alu instid0(VALU_DEP_3)
	v_mad_co_u64_u32 v[11:12], null, s13, v11, v[4:5]
	global_store_b128 v[2:3], v[49:52], off
	v_mad_co_u64_u32 v[2:3], null, s12, v14, 0
	global_store_b128 v[0:1], v[25:28], off
	v_mov_b32_e32 v0, v10
	v_lshlrev_b64_e32 v[7:8], 4, v[7:8]
	v_mov_b32_e32 v6, v11
	v_mad_co_u64_u32 v[11:12], null, s12, v15, 0
	s_delay_alu instid0(VALU_DEP_4) | instskip(SKIP_1) | instid1(VALU_DEP_4)
	v_mad_co_u64_u32 v[0:1], null, s13, v13, v[0:1]
	v_mov_b32_e32 v1, v3
	v_lshlrev_b64_e32 v[3:4], 4, v[5:6]
	v_add_co_u32 v7, vcc_lo, v17, v7
	s_wait_alu 0xfffd
	v_add_co_ci_u32_e32 v8, vcc_lo, v18, v8, vcc_lo
	v_mov_b32_e32 v10, v0
	v_mov_b32_e32 v0, v12
	v_add_co_u32 v12, vcc_lo, v17, v3
	s_wait_alu 0xfffd
	v_add_co_ci_u32_e32 v13, vcc_lo, v18, v4, vcc_lo
	s_clause 0x1
	global_store_b128 v[7:8], v[21:24], off
	global_store_b128 v[12:13], v[37:40], off
	scratch_load_b128 v[20:23], off, off offset:88 th:TH_LOAD_LU ; 16-byte Folded Reload
	v_mad_co_u64_u32 v[5:6], null, s13, v14, v[1:2]
	v_lshlrev_b64_e32 v[9:10], 4, v[9:10]
	v_mad_co_u64_u32 v[0:1], null, s13, v15, v[0:1]
	v_add_nc_u32_e32 v13, 0xdd, v16
	s_delay_alu instid0(VALU_DEP_4) | instskip(NEXT) | instid1(VALU_DEP_3)
	v_dual_mov_b32 v3, v5 :: v_dual_add_nc_u32 v14, 0xee, v16
	v_mov_b32_e32 v12, v0
	s_delay_alu instid0(VALU_DEP_2) | instskip(NEXT) | instid1(VALU_DEP_3)
	v_mad_co_u64_u32 v[7:8], null, s12, v14, 0
	v_lshlrev_b64_e32 v[1:2], 4, v[2:3]
	v_add_co_u32 v3, vcc_lo, v17, v9
	v_add_nc_u32_e32 v9, 0xcc, v16
	s_wait_alu 0xfffd
	v_add_co_ci_u32_e32 v4, vcc_lo, v18, v10, vcc_lo
	s_delay_alu instid0(VALU_DEP_4) | instskip(NEXT) | instid1(VALU_DEP_3)
	v_add_co_u32 v0, vcc_lo, v17, v1
	v_mad_co_u64_u32 v[5:6], null, s12, v9, 0
	s_wait_alu 0xfffd
	v_add_co_ci_u32_e32 v1, vcc_lo, v18, v2, vcc_lo
	global_store_b128 v[3:4], v[33:36], off
	v_lshlrev_b64_e32 v[2:3], 4, v[11:12]
	v_add_nc_u32_e32 v16, 0x110, v16
	global_store_b128 v[0:1], v[145:148], off
	v_mov_b32_e32 v4, v6
	v_mad_co_u64_u32 v[0:1], null, s12, v13, 0
	v_add_co_u32 v2, vcc_lo, v17, v2
	s_delay_alu instid0(VALU_DEP_3) | instskip(SKIP_2) | instid1(VALU_DEP_3)
	v_mad_co_u64_u32 v[9:10], null, s13, v9, v[4:5]
	s_wait_alu 0xfffd
	v_add_co_ci_u32_e32 v3, vcc_lo, v18, v3, vcc_lo
	v_mad_co_u64_u32 v[10:11], null, s13, v13, v[1:2]
	v_mad_co_u64_u32 v[11:12], null, s12, v19, 0
	s_delay_alu instid0(VALU_DEP_4) | instskip(NEXT) | instid1(VALU_DEP_1)
	v_dual_mov_b32 v1, v8 :: v_dual_mov_b32 v6, v9
	v_mad_co_u64_u32 v[13:14], null, s13, v14, v[1:2]
	v_mad_co_u64_u32 v[14:15], null, s12, v16, 0
	s_delay_alu instid0(VALU_DEP_2) | instskip(NEXT) | instid1(VALU_DEP_1)
	v_dual_mov_b32 v1, v10 :: v_dual_mov_b32 v8, v13
	v_lshlrev_b64_e32 v[0:1], 4, v[0:1]
	s_wait_loadcnt 0x0
	global_store_b128 v[2:3], v[20:23], off
	v_lshlrev_b64_e32 v[3:4], 4, v[5:6]
	v_mov_b32_e32 v2, v12
	s_delay_alu instid0(VALU_DEP_1)
	v_mad_co_u64_u32 v[5:6], null, s13, v19, v[2:3]
	v_mov_b32_e32 v2, v15
	v_add_co_u32 v3, vcc_lo, v17, v3
	v_lshlrev_b64_e32 v[6:7], 4, v[7:8]
	s_wait_alu 0xfffd
	v_add_co_ci_u32_e32 v4, vcc_lo, v18, v4, vcc_lo
	s_delay_alu instid0(VALU_DEP_3) | instskip(SKIP_4) | instid1(VALU_DEP_3)
	v_mad_co_u64_u32 v[9:10], null, s13, v16, v[2:3]
	v_mov_b32_e32 v12, v5
	v_add_co_u32 v0, vcc_lo, v17, v0
	s_wait_alu 0xfffd
	v_add_co_ci_u32_e32 v1, vcc_lo, v18, v1, vcc_lo
	v_lshlrev_b64_e32 v[10:11], 4, v[11:12]
	v_mov_b32_e32 v15, v9
	v_add_co_u32 v5, vcc_lo, v17, v6
	s_wait_alu 0xfffd
	v_add_co_ci_u32_e32 v6, vcc_lo, v18, v7, vcc_lo
	s_delay_alu instid0(VALU_DEP_4)
	v_add_co_u32 v9, vcc_lo, v17, v10
	v_lshlrev_b64_e32 v[7:8], 4, v[14:15]
	s_wait_alu 0xfffd
	v_add_co_ci_u32_e32 v10, vcc_lo, v18, v11, vcc_lo
	scratch_load_b128 v[11:14], off, off offset:72 th:TH_LOAD_LU ; 16-byte Folded Reload
	v_add_co_u32 v7, vcc_lo, v17, v7
	s_wait_alu 0xfffd
	v_add_co_ci_u32_e32 v8, vcc_lo, v18, v8, vcc_lo
	s_wait_loadcnt 0x0
	global_store_b128 v[3:4], v[11:14], off
	scratch_load_b128 v[11:14], off, off offset:56 th:TH_LOAD_LU ; 16-byte Folded Reload
	s_wait_loadcnt 0x0
	global_store_b128 v[0:1], v[11:14], off
	scratch_load_b128 v[0:3], off, off offset:40 th:TH_LOAD_LU ; 16-byte Folded Reload
	s_wait_loadcnt 0x0
	global_store_b128 v[5:6], v[0:3], off
	scratch_load_b128 v[0:3], off, off offset:24 th:TH_LOAD_LU ; 16-byte Folded Reload
	s_wait_loadcnt 0x0
	global_store_b128 v[9:10], v[0:3], off
	scratch_load_b128 v[0:3], off, off offset:8 th:TH_LOAD_LU ; 16-byte Folded Reload
	s_wait_loadcnt 0x0
	global_store_b128 v[7:8], v[0:3], off
.LBB0_50:
	s_endpgm
	.section	.rodata,"a",@progbits
	.p2align	6, 0x0
	.amdhsa_kernel fft_rtc_fwd_len289_factors_17_17_wgs_119_tpt_17_dp_ip_CI_sbcc_twdbase5_3step_dirReg_intrinsicRead
		.amdhsa_group_segment_fixed_size 0
		.amdhsa_private_segment_fixed_size 744
		.amdhsa_kernarg_size 96
		.amdhsa_user_sgpr_count 2
		.amdhsa_user_sgpr_dispatch_ptr 0
		.amdhsa_user_sgpr_queue_ptr 0
		.amdhsa_user_sgpr_kernarg_segment_ptr 1
		.amdhsa_user_sgpr_dispatch_id 0
		.amdhsa_user_sgpr_private_segment_size 0
		.amdhsa_wavefront_size32 1
		.amdhsa_uses_dynamic_stack 0
		.amdhsa_enable_private_segment 1
		.amdhsa_system_sgpr_workgroup_id_x 1
		.amdhsa_system_sgpr_workgroup_id_y 0
		.amdhsa_system_sgpr_workgroup_id_z 0
		.amdhsa_system_sgpr_workgroup_info 0
		.amdhsa_system_vgpr_workitem_id 0
		.amdhsa_next_free_vgpr 256
		.amdhsa_next_free_sgpr 59
		.amdhsa_reserve_vcc 1
		.amdhsa_float_round_mode_32 0
		.amdhsa_float_round_mode_16_64 0
		.amdhsa_float_denorm_mode_32 3
		.amdhsa_float_denorm_mode_16_64 3
		.amdhsa_fp16_overflow 0
		.amdhsa_workgroup_processor_mode 1
		.amdhsa_memory_ordered 1
		.amdhsa_forward_progress 0
		.amdhsa_round_robin_scheduling 0
		.amdhsa_exception_fp_ieee_invalid_op 0
		.amdhsa_exception_fp_denorm_src 0
		.amdhsa_exception_fp_ieee_div_zero 0
		.amdhsa_exception_fp_ieee_overflow 0
		.amdhsa_exception_fp_ieee_underflow 0
		.amdhsa_exception_fp_ieee_inexact 0
		.amdhsa_exception_int_div_zero 0
	.end_amdhsa_kernel
	.text
.Lfunc_end0:
	.size	fft_rtc_fwd_len289_factors_17_17_wgs_119_tpt_17_dp_ip_CI_sbcc_twdbase5_3step_dirReg_intrinsicRead, .Lfunc_end0-fft_rtc_fwd_len289_factors_17_17_wgs_119_tpt_17_dp_ip_CI_sbcc_twdbase5_3step_dirReg_intrinsicRead
                                        ; -- End function
	.section	.AMDGPU.csdata,"",@progbits
; Kernel info:
; codeLenInByte = 21200
; NumSgprs: 61
; NumVgprs: 256
; ScratchSize: 744
; MemoryBound: 0
; FloatMode: 240
; IeeeMode: 1
; LDSByteSize: 0 bytes/workgroup (compile time only)
; SGPRBlocks: 7
; VGPRBlocks: 31
; NumSGPRsForWavesPerEU: 61
; NumVGPRsForWavesPerEU: 256
; Occupancy: 5
; WaveLimiterHint : 1
; COMPUTE_PGM_RSRC2:SCRATCH_EN: 1
; COMPUTE_PGM_RSRC2:USER_SGPR: 2
; COMPUTE_PGM_RSRC2:TRAP_HANDLER: 0
; COMPUTE_PGM_RSRC2:TGID_X_EN: 1
; COMPUTE_PGM_RSRC2:TGID_Y_EN: 0
; COMPUTE_PGM_RSRC2:TGID_Z_EN: 0
; COMPUTE_PGM_RSRC2:TIDIG_COMP_CNT: 0
	.text
	.p2alignl 7, 3214868480
	.fill 96, 4, 3214868480
	.type	__hip_cuid_ba57064805546243,@object ; @__hip_cuid_ba57064805546243
	.section	.bss,"aw",@nobits
	.globl	__hip_cuid_ba57064805546243
__hip_cuid_ba57064805546243:
	.byte	0                               ; 0x0
	.size	__hip_cuid_ba57064805546243, 1

	.ident	"AMD clang version 19.0.0git (https://github.com/RadeonOpenCompute/llvm-project roc-6.4.0 25133 c7fe45cf4b819c5991fe208aaa96edf142730f1d)"
	.section	".note.GNU-stack","",@progbits
	.addrsig
	.addrsig_sym __hip_cuid_ba57064805546243
	.amdgpu_metadata
---
amdhsa.kernels:
  - .args:
      - .actual_access:  read_only
        .address_space:  global
        .offset:         0
        .size:           8
        .value_kind:     global_buffer
      - .address_space:  global
        .offset:         8
        .size:           8
        .value_kind:     global_buffer
      - .offset:         16
        .size:           8
        .value_kind:     by_value
      - .actual_access:  read_only
        .address_space:  global
        .offset:         24
        .size:           8
        .value_kind:     global_buffer
      - .actual_access:  read_only
        .address_space:  global
        .offset:         32
        .size:           8
        .value_kind:     global_buffer
      - .offset:         40
        .size:           8
        .value_kind:     by_value
      - .actual_access:  read_only
        .address_space:  global
        .offset:         48
        .size:           8
        .value_kind:     global_buffer
      - .actual_access:  read_only
        .address_space:  global
        .offset:         56
        .size:           8
        .value_kind:     global_buffer
      - .offset:         64
        .size:           4
        .value_kind:     by_value
      - .actual_access:  read_only
        .address_space:  global
        .offset:         72
        .size:           8
        .value_kind:     global_buffer
      - .actual_access:  read_only
        .address_space:  global
        .offset:         80
        .size:           8
        .value_kind:     global_buffer
      - .address_space:  global
        .offset:         88
        .size:           8
        .value_kind:     global_buffer
    .group_segment_fixed_size: 0
    .kernarg_segment_align: 8
    .kernarg_segment_size: 96
    .language:       OpenCL C
    .language_version:
      - 2
      - 0
    .max_flat_workgroup_size: 119
    .name:           fft_rtc_fwd_len289_factors_17_17_wgs_119_tpt_17_dp_ip_CI_sbcc_twdbase5_3step_dirReg_intrinsicRead
    .private_segment_fixed_size: 744
    .sgpr_count:     61
    .sgpr_spill_count: 0
    .symbol:         fft_rtc_fwd_len289_factors_17_17_wgs_119_tpt_17_dp_ip_CI_sbcc_twdbase5_3step_dirReg_intrinsicRead.kd
    .uniform_work_group_size: 1
    .uses_dynamic_stack: false
    .vgpr_count:     256
    .vgpr_spill_count: 228
    .wavefront_size: 32
    .workgroup_processor_mode: 1
amdhsa.target:   amdgcn-amd-amdhsa--gfx1201
amdhsa.version:
  - 1
  - 2
...

	.end_amdgpu_metadata
